;; amdgpu-corpus repo=ggml-org/llama.cpp kind=compiled arch=gfx950 opt=O3
	.amdgcn_target "amdgcn-amd-amdhsa--gfx950"
	.amdhsa_code_object_version 6
	.section	.text._ZL21gated_linear_attn_f32ILi64EEviiiifPKfS1_S1_S1_S1_Pf,"axG",@progbits,_ZL21gated_linear_attn_f32ILi64EEviiiifPKfS1_S1_S1_S1_Pf,comdat
	.globl	_ZL21gated_linear_attn_f32ILi64EEviiiifPKfS1_S1_S1_S1_Pf ; -- Begin function _ZL21gated_linear_attn_f32ILi64EEviiiifPKfS1_S1_S1_S1_Pf
	.p2align	8
	.type	_ZL21gated_linear_attn_f32ILi64EEviiiifPKfS1_S1_S1_S1_Pf,@function
_ZL21gated_linear_attn_f32ILi64EEviiiifPKfS1_S1_S1_S1_Pf: ; @_ZL21gated_linear_attn_f32ILi64EEviiiifPKfS1_S1_S1_S1_Pf
; %bb.0:
	s_load_dwordx4 s[16:19], s[0:1], 0x0
	s_load_dwordx4 s[12:15], s[0:1], 0x38
	s_abs_i32 s4, s2
	s_waitcnt lgkmcnt(0)
	s_abs_i32 s3, s19
	v_cvt_f32_u32_e32 v1, s3
	s_sub_i32 s6, 0, s3
	s_xor_b32 s5, s2, s19
	s_ashr_i32 s5, s5, 31
	v_rcp_iflag_f32_e32 v1, v1
	s_nop 0
	v_mul_f32_e32 v1, 0x4f7ffffe, v1
	v_cvt_u32_f32_e32 v1, v1
	s_nop 0
	v_readfirstlane_b32 s7, v1
	s_mul_i32 s6, s6, s7
	s_mul_hi_u32 s6, s7, s6
	s_add_i32 s7, s7, s6
	s_mul_hi_u32 s6, s4, s7
	s_mul_i32 s7, s6, s3
	s_sub_i32 s4, s4, s7
	s_add_i32 s8, s6, 1
	s_sub_i32 s7, s4, s3
	s_cmp_ge_u32 s4, s3
	s_cselect_b32 s6, s8, s6
	s_cselect_b32 s4, s7, s4
	s_add_i32 s7, s6, 1
	s_cmp_ge_u32 s4, s3
	s_cselect_b32 s3, s7, s6
	s_xor_b32 s3, s3, s5
	s_sub_i32 s3, s3, s5
	s_mul_i32 s4, s3, s19
	s_mul_i32 s5, s18, s3
	s_sub_i32 s2, s2, s4
	s_lshl_b32 s4, s5, 6
	s_lshl_b32 s5, s2, 12
	s_add_i32 s5, s5, s4
	v_add_u32_e32 v2, s5, v0
	v_ashrrev_i32_e32 v3, 31, v2
	v_lshl_add_u64 v[20:21], v[2:3], 2, s[12:13]
	global_load_dword v92, v[20:21], off
	global_load_dword v93, v[20:21], off offset:256
	global_load_dword v90, v[20:21], off offset:512
	;; [unrolled: 1-line block ×15, first 2 shown]
	v_add_u32_e32 v20, 0x400, v2
	v_ashrrev_i32_e32 v21, 31, v20
	v_lshl_add_u64 v[26:27], v[20:21], 2, s[12:13]
	v_add_u32_e32 v20, 0x440, v2
	v_ashrrev_i32_e32 v21, 31, v20
	v_lshl_add_u64 v[30:31], v[20:21], 2, s[12:13]
	v_add_u32_e32 v20, 0x480, v2
	v_ashrrev_i32_e32 v21, 31, v20
	v_lshl_add_u64 v[32:33], v[20:21], 2, s[12:13]
	v_add_u32_e32 v20, 0x4c0, v2
	v_ashrrev_i32_e32 v21, 31, v20
	v_lshl_add_u64 v[34:35], v[20:21], 2, s[12:13]
	v_add_u32_e32 v20, 0x500, v2
	v_ashrrev_i32_e32 v21, 31, v20
	v_lshl_add_u64 v[36:37], v[20:21], 2, s[12:13]
	v_add_u32_e32 v20, 0x540, v2
	v_ashrrev_i32_e32 v21, 31, v20
	v_lshl_add_u64 v[38:39], v[20:21], 2, s[12:13]
	v_add_u32_e32 v20, 0x580, v2
	v_ashrrev_i32_e32 v21, 31, v20
	v_lshl_add_u64 v[40:41], v[20:21], 2, s[12:13]
	v_add_u32_e32 v20, 0x5c0, v2
	v_ashrrev_i32_e32 v21, 31, v20
	v_lshl_add_u64 v[42:43], v[20:21], 2, s[12:13]
	global_load_dword v28, v[26:27], off
	global_load_dword v29, v[30:31], off
	global_load_dword v24, v[32:33], off
	global_load_dword v25, v[34:35], off
	global_load_dword v22, v[36:37], off
	global_load_dword v23, v[38:39], off
	global_load_dword v20, v[40:41], off
	global_load_dword v21, v[42:43], off
	v_add_u32_e32 v26, 0x600, v2
	v_ashrrev_i32_e32 v27, 31, v26
	v_lshl_add_u64 v[34:35], v[26:27], 2, s[12:13]
	v_add_u32_e32 v26, 0x640, v2
	v_ashrrev_i32_e32 v27, 31, v26
	v_lshl_add_u64 v[38:39], v[26:27], 2, s[12:13]
	v_add_u32_e32 v26, 0x680, v2
	v_ashrrev_i32_e32 v27, 31, v26
	v_lshl_add_u64 v[40:41], v[26:27], 2, s[12:13]
	v_add_u32_e32 v26, 0x6c0, v2
	v_ashrrev_i32_e32 v27, 31, v26
	v_lshl_add_u64 v[42:43], v[26:27], 2, s[12:13]
	v_add_u32_e32 v26, 0x700, v2
	v_ashrrev_i32_e32 v27, 31, v26
	v_lshl_add_u64 v[44:45], v[26:27], 2, s[12:13]
	v_add_u32_e32 v26, 0x740, v2
	v_ashrrev_i32_e32 v27, 31, v26
	v_lshl_add_u64 v[46:47], v[26:27], 2, s[12:13]
	v_add_u32_e32 v26, 0x780, v2
	v_ashrrev_i32_e32 v27, 31, v26
	v_lshl_add_u64 v[48:49], v[26:27], 2, s[12:13]
	v_add_u32_e32 v26, 0x7c0, v2
	v_ashrrev_i32_e32 v27, 31, v26
	v_lshl_add_u64 v[50:51], v[26:27], 2, s[12:13]
	global_load_dword v36, v[34:35], off
	global_load_dword v37, v[38:39], off
	global_load_dword v32, v[40:41], off
	global_load_dword v33, v[42:43], off
	global_load_dword v30, v[44:45], off
	global_load_dword v31, v[46:47], off
	global_load_dword v26, v[48:49], off
	global_load_dword v27, v[50:51], off
	;; [unrolled: 32-line block ×3, first 2 shown]
	v_add_u32_e32 v46, 0xa40, v2
	v_ashrrev_i32_e32 v47, 31, v46
	v_lshl_add_u64 v[52:53], v[46:47], 2, s[12:13]
	v_add_u32_e32 v46, 0xa80, v2
	v_ashrrev_i32_e32 v47, 31, v46
	v_lshl_add_u64 v[54:55], v[46:47], 2, s[12:13]
	;; [unrolled: 3-line block ×5, first 2 shown]
	v_add_u32_e32 v46, 0xb80, v2
	v_add_u32_e32 v44, 0xa00, v2
	v_ashrrev_i32_e32 v47, 31, v46
	v_ashrrev_i32_e32 v45, 31, v44
	v_lshl_add_u64 v[62:63], v[46:47], 2, s[12:13]
	v_add_u32_e32 v46, 0xbc0, v2
	v_lshl_add_u64 v[44:45], v[44:45], 2, s[12:13]
	v_ashrrev_i32_e32 v47, 31, v46
	v_lshl_add_u64 v[64:65], v[46:47], 2, s[12:13]
	global_load_dword v50, v[44:45], off
	global_load_dword v51, v[52:53], off
	;; [unrolled: 1-line block ×6, first 2 shown]
                                        ; kill: killed $vgpr54_vgpr55
                                        ; kill: killed $vgpr52_vgpr53
                                        ; kill: killed $vgpr44_vgpr45
                                        ; kill: killed $vgpr60_vgpr61
                                        ; kill: killed $vgpr58_vgpr59
                                        ; kill: killed $vgpr56_vgpr57
	global_load_dword v44, v[62:63], off
	global_load_dword v45, v[64:65], off
	v_add_u32_e32 v60, 0xd00, v2
	v_ashrrev_i32_e32 v61, 31, v60
	v_lshl_add_u64 v[62:63], v[60:61], 2, s[12:13]
	v_add_u32_e32 v60, 0xd40, v2
	v_ashrrev_i32_e32 v61, 31, v60
	v_lshl_add_u64 v[64:65], v[60:61], 2, s[12:13]
	v_add_u32_e32 v60, 0xd80, v2
	v_add_u32_e32 v52, 0xc00, v2
	;; [unrolled: 1-line block ×4, first 2 shown]
	v_ashrrev_i32_e32 v61, 31, v60
	v_ashrrev_i32_e32 v53, 31, v52
	;; [unrolled: 1-line block ×4, first 2 shown]
	v_add_u32_e32 v58, 0xcc0, v2
	v_lshl_add_u64 v[66:67], v[60:61], 2, s[12:13]
	v_add_u32_e32 v60, 0xdc0, v2
	v_lshl_add_u64 v[52:53], v[52:53], 2, s[12:13]
	v_lshl_add_u64 v[54:55], v[54:55], 2, s[12:13]
	;; [unrolled: 1-line block ×3, first 2 shown]
	v_ashrrev_i32_e32 v59, 31, v58
	v_ashrrev_i32_e32 v61, 31, v60
	v_lshl_add_u64 v[58:59], v[58:59], 2, s[12:13]
	v_lshl_add_u64 v[68:69], v[60:61], 2, s[12:13]
	global_load_dword v60, v[52:53], off
	global_load_dword v61, v[54:55], off
	s_nop 0
	global_load_dword v56, v[56:57], off
	s_nop 0
	global_load_dword v57, v[58:59], off
	global_load_dword v54, v[62:63], off
	global_load_dword v55, v[64:65], off
                                        ; kill: killed $vgpr64_vgpr65
                                        ; kill: killed $vgpr62_vgpr63
	global_load_dword v52, v[66:67], off
	global_load_dword v53, v[68:69], off
	v_add_u32_e32 v66, 0xec0, v2
	v_ashrrev_i32_e32 v67, 31, v66
	v_lshl_add_u64 v[68:69], v[66:67], 2, s[12:13]
	v_add_u32_e32 v66, 0xf00, v2
	v_ashrrev_i32_e32 v67, 31, v66
	v_lshl_add_u64 v[70:71], v[66:67], 2, s[12:13]
	;; [unrolled: 3-line block ×3, first 2 shown]
	v_add_u32_e32 v66, 0xf80, v2
	v_add_u32_e32 v58, 0xe00, v2
	;; [unrolled: 1-line block ×4, first 2 shown]
	v_ashrrev_i32_e32 v67, 31, v66
	v_ashrrev_i32_e32 v59, 31, v58
	;; [unrolled: 1-line block ×4, first 2 shown]
	v_lshl_add_u64 v[74:75], v[66:67], 2, s[12:13]
	v_add_u32_e32 v66, 0xfc0, v2
	v_lshl_add_u64 v[58:59], v[58:59], 2, s[12:13]
	v_lshl_add_u64 v[62:63], v[62:63], 2, s[12:13]
	;; [unrolled: 1-line block ×3, first 2 shown]
	v_ashrrev_i32_e32 v67, 31, v66
	v_lshl_add_u64 v[76:77], v[66:67], 2, s[12:13]
	global_load_dword v66, v[58:59], off
	global_load_dword v67, v[62:63], off
	s_nop 0
	global_load_dword v64, v[64:65], off
	s_nop 0
	global_load_dword v65, v[68:69], off
	global_load_dword v62, v[70:71], off
	;; [unrolled: 1-line block ×5, first 2 shown]
	s_abs_i32 s4, s16
	v_cvt_f32_u32_e32 v1, s4
	s_sub_i32 s8, 0, s4
	s_abs_i32 s7, s17
	s_xor_b32 s6, s17, s16
	v_rcp_iflag_f32_e32 v1, v1
	s_ashr_i32 s6, s6, 31
	v_mul_f32_e32 v1, 0x4f7ffffe, v1
	v_cvt_u32_f32_e32 v1, v1
	s_nop 0
	v_readfirstlane_b32 s5, v1
	s_mul_i32 s8, s8, s5
	s_mul_hi_u32 s8, s5, s8
	s_add_i32 s5, s5, s8
	s_mul_hi_u32 s5, s7, s5
	s_mul_i32 s8, s5, s4
	s_sub_i32 s7, s7, s8
	s_add_i32 s8, s5, 1
	s_sub_i32 s9, s7, s4
	s_cmp_ge_u32 s7, s4
	s_cselect_b32 s5, s8, s5
	s_cselect_b32 s7, s9, s7
	s_add_i32 s8, s5, 1
	s_cmp_ge_u32 s7, s4
	s_cselect_b32 s4, s8, s5
	s_xor_b32 s4, s4, s6
	s_sub_i32 s4, s4, s6
	s_mul_i32 s4, s4, s18
	s_mul_i32 s5, s4, s3
	s_add_i32 s3, s3, 1
	s_mul_i32 s4, s4, s3
	v_lshl_add_u32 v1, s2, 6, v0
	v_add_u32_e32 v71, s4, v1
	v_add_u32_e32 v68, s5, v1
	v_cmp_lt_i32_e32 vcc, v68, v71
	s_and_saveexec_b64 s[2:3], vcc
	s_cbranch_execz .LBB0_4
; %bb.1:
	scratch_store_dwordx2 off, v[2:3], off offset:12 ; 8-byte Folded Spill
	s_load_dword s16, s[0:1], 0x10
	s_load_dwordx8 s[4:11], s[0:1], 0x18
	v_lshlrev_b32_e32 v0, 2, v0
	v_add_u32_e32 v1, 0x100, v0
	scratch_store_dword off, v1, off offset:4 ; 4-byte Folded Spill
	scratch_store_dword off, v0, off        ; 4-byte Folded Spill
	v_add_u32_e32 v0, 0x200, v0
	v_ashrrev_i32_e32 v69, 31, v68
	s_ashr_i32 s19, s18, 31
	scratch_store_dword off, v0, off offset:8 ; 4-byte Folded Spill
	v_lshlrev_b64 v[0:1], 2, v[68:69]
	s_lshl_b64 s[12:13], s[18:19], 2
	s_mov_b64 s[0:1], 0
	v_mov_b32_e32 v69, 0
.LBB0_2:                                ; =>This Inner Loop Header: Depth=1
	s_waitcnt lgkmcnt(0)
	v_lshl_add_u64 v[74:75], s[4:5], 0, v[0:1]
	s_waitcnt vmcnt(63) expcnt(7) lgkmcnt(15)
	s_barrier
	v_lshl_add_u64 v[76:77], s[8:9], 0, v[0:1]
	v_lshl_add_u64 v[78:79], s[10:11], 0, v[0:1]
	global_load_dword v70, v[74:75], off
	s_nop 0
	global_load_dword v74, v[76:77], off
	global_load_dword v75, v[78:79], off
	scratch_load_dword v2, off, off         ; 4-byte Folded Reload
	v_lshl_add_u64 v[76:77], s[6:7], 0, v[0:1]
	v_add_u32_e32 v68, s18, v68
	v_cmp_ge_i32_e32 vcc, v68, v71
	s_or_b64 s[0:1], vcc, s[0:1]
	s_waitcnt vmcnt(0)
	ds_write_b32 v2, v70
	scratch_load_dword v2, off, off offset:4 ; 4-byte Folded Reload
	s_waitcnt vmcnt(0)
	ds_write_b32 v2, v74
	scratch_load_dword v2, off, off offset:8 ; 4-byte Folded Reload
	s_waitcnt vmcnt(0)
	ds_write_b32 v2, v75
	s_waitcnt lgkmcnt(0)
	s_barrier
	global_load_dword v70, v[76:77], off
	ds_read_b128 v[74:77], v69 offset:512
	ds_read_b128 v[78:81], v69 offset:528
	;; [unrolled: 1-line block ×5, first 2 shown]
	s_waitcnt lgkmcnt(4)
	v_pk_mul_f32 v[74:75], v[92:93], v[74:75]
	s_waitcnt lgkmcnt(3)
	v_pk_mul_f32 v[78:79], v[14:15], v[78:79]
	v_pk_mul_f32 v[80:81], v[12:13], v[80:81]
	ds_read_b128 v[12:15], v69 offset:592
	s_waitcnt lgkmcnt(3)
	v_pk_mul_f32 v[82:83], v[10:11], v[82:83]
	ds_read_b128 v[8:11], v69 offset:608
	s_waitcnt lgkmcnt(3)
	v_pk_mul_f32 v[86:87], v[18:19], v[86:87]
	v_pk_mul_f32 v[88:89], v[16:17], v[88:89]
	ds_read_b128 v[16:19], v69 offset:624
	v_pk_mul_f32 v[76:77], v[90:91], v[76:77]
	v_pk_mul_f32 v[84:85], v[94:95], v[84:85]
	s_waitcnt lgkmcnt(3)
	v_pk_mul_f32 v[90:91], v[28:29], v[4:5]
	v_pk_mul_f32 v[92:93], v[24:25], v[6:7]
	ds_read_b128 v[4:7], v69 offset:640
	s_waitcnt lgkmcnt(3)
	v_pk_mul_f32 v[94:95], v[22:23], v[12:13]
	v_pk_mul_f32 v[96:97], v[20:21], v[14:15]
	ds_read_b128 v[12:15], v69 offset:656
	;; [unrolled: 4-line block ×3, first 2 shown]
	ds_read_b128 v[20:23], v69
	s_waitcnt lgkmcnt(4)
	v_pk_mul_f32 v[102:103], v[30:31], v[16:17]
	v_pk_mul_f32 v[104:105], v[26:27], v[18:19]
	ds_read_b128 v[16:19], v69 offset:688
	s_waitcnt lgkmcnt(4)
	v_pk_mul_f32 v[106:107], v[42:43], v[4:5]
	v_pk_mul_f32 v[108:109], v[40:41], v[6:7]
	ds_read_b128 v[4:7], v69 offset:704
	;; [unrolled: 4-line block ×4, first 2 shown]
	ds_read_b128 v[24:27], v69 offset:16
	ds_read_b128 v[28:31], v69 offset:32
	;; [unrolled: 1-line block ×3, first 2 shown]
	s_waitcnt lgkmcnt(6)
	v_pk_mul_f32 v[118:119], v[46:47], v[16:17]
	v_pk_mul_f32 v[120:121], v[44:45], v[18:19]
	ds_read_b128 v[16:19], v69 offset:752
	s_waitcnt lgkmcnt(6)
	v_pk_mul_f32 v[122:123], v[60:61], v[4:5]
	s_waitcnt lgkmcnt(5)
	v_pk_mul_f32 v[126:127], v[54:55], v[12:13]
	v_pk_mul_f32 v[72:73], v[52:53], v[14:15]
	s_waitcnt lgkmcnt(4)
	v_pk_mul_f32 v[2:3], v[66:67], v[8:9]
	v_pk_mul_f32 v[4:5], v[64:65], v[10:11]
	ds_read_b128 v[64:67], v69 offset:192
	v_pk_mul_f32 v[124:125], v[56:57], v[6:7]
	s_waitcnt lgkmcnt(1)
	v_pk_mul_f32 v[6:7], v[62:63], v[16:17]
	v_pk_mul_f32 v[8:9], v[58:59], v[18:19]
	ds_read_b128 v[40:43], v69 offset:96
	ds_read_b128 v[44:47], v69 offset:112
	;; [unrolled: 1-line block ×6, first 2 shown]
	s_waitcnt vmcnt(0)
	v_pk_fma_f32 v[50:51], v[70:71], v[20:21], v[74:75] op_sel_hi:[0,1,1]
	v_pk_fma_f32 v[48:49], v[70:71], v[22:23], v[76:77] op_sel_hi:[0,1,1]
	ds_read_b128 v[20:23], v69 offset:64
	v_pk_fma_f32 v[14:15], v[70:71], v[24:25], v[78:79] op_sel_hi:[0,1,1]
	v_pk_fma_f32 v[10:11], v[70:71], v[28:29], v[82:83] op_sel_hi:[0,1,1]
	ds_read_b128 v[74:77], v69 offset:208
	v_pk_fma_f32 v[12:13], v[70:71], v[26:27], v[80:81] op_sel_hi:[0,1,1]
	s_waitcnt lgkmcnt(1)
	v_pk_fma_f32 v[28:29], v[70:71], v[20:21], v[90:91] op_sel_hi:[0,1,1]
	v_mov_b64_e32 v[90:91], v[48:49]
	v_pk_fma_f32 v[24:25], v[70:71], v[22:23], v[92:93] op_sel_hi:[0,1,1]
	v_mov_b64_e32 v[92:93], v[50:51]
	ds_read_b128 v[48:51], v69 offset:128
	v_pk_fma_f32 v[26:27], v[70:71], v[30:31], v[84:85] op_sel_hi:[0,1,1]
	v_pk_fma_f32 v[18:19], v[70:71], v[32:33], v[86:87] op_sel_hi:[0,1,1]
	;; [unrolled: 1-line block ×3, first 2 shown]
	ds_read_b128 v[78:81], v69 offset:224
	ds_read_b128 v[82:85], v69 offset:240
	;; [unrolled: 1-line block ×3, first 2 shown]
	v_pk_fma_f32 v[20:21], v[70:71], v[38:39], v[96:97] op_sel_hi:[0,1,1]
	v_pk_fma_f32 v[38:39], v[70:71], v[52:53], v[110:111] op_sel_hi:[0,1,1]
	;; [unrolled: 1-line block ×3, first 2 shown]
	s_waitcnt lgkmcnt(4)
	v_pk_fma_f32 v[54:55], v[70:71], v[74:75], v[126:127] op_sel_hi:[0,1,1]
	v_pk_fma_f32 v[52:53], v[70:71], v[76:77], v[72:73] op_sel_hi:[0,1,1]
	ds_read_b128 v[74:77], v69 offset:272
	v_pk_fma_f32 v[22:23], v[70:71], v[36:37], v[94:95] op_sel_hi:[0,1,1]
	v_mov_b64_e32 v[94:95], v[26:27]
	v_pk_fma_f32 v[36:37], v[70:71], v[40:41], v[98:99] op_sel_hi:[0,1,1]
	v_pk_fma_f32 v[32:33], v[70:71], v[42:43], v[100:101] op_sel_hi:[0,1,1]
	;; [unrolled: 1-line block ×4, first 2 shown]
	s_waitcnt lgkmcnt(4)
	v_pk_fma_f32 v[42:43], v[70:71], v[48:49], v[106:107] op_sel_hi:[0,1,1]
	v_pk_fma_f32 v[40:41], v[70:71], v[50:51], v[108:109] op_sel_hi:[0,1,1]
	;; [unrolled: 1-line block ×8, first 2 shown]
	s_waitcnt lgkmcnt(3)
	v_pk_fma_f32 v[66:67], v[70:71], v[78:79], v[2:3] op_sel_hi:[0,1,1]
	v_pk_fma_f32 v[64:65], v[70:71], v[80:81], v[4:5] op_sel_hi:[0,1,1]
	s_waitcnt lgkmcnt(2)
	v_pk_fma_f32 v[62:63], v[70:71], v[82:83], v[6:7] op_sel_hi:[0,1,1]
	v_pk_fma_f32 v[58:59], v[70:71], v[84:85], v[8:9] op_sel_hi:[0,1,1]
	s_waitcnt lgkmcnt(1)
	v_fma_f32 v70, v92, v86, 0
	v_fmac_f32_e32 v70, v93, v87
	v_fmac_f32_e32 v70, v90, v88
	ds_read_b128 v[78:81], v69 offset:288
	ds_read_b128 v[82:85], v69 offset:304
	v_fmac_f32_e32 v70, v91, v89
	s_waitcnt lgkmcnt(2)
	v_fmac_f32_e32 v70, v14, v74
	v_fmac_f32_e32 v70, v15, v75
	v_fmac_f32_e32 v70, v12, v76
	v_fmac_f32_e32 v70, v13, v77
	s_waitcnt lgkmcnt(1)
	v_fmac_f32_e32 v70, v10, v78
	v_fmac_f32_e32 v70, v11, v79
	v_fmac_f32_e32 v70, v94, v80
	ds_read_b128 v[86:89], v69 offset:320
	ds_read_b128 v[74:77], v69 offset:336
	v_fmac_f32_e32 v70, v95, v81
	s_waitcnt lgkmcnt(2)
	v_fmac_f32_e32 v70, v18, v82
	v_fmac_f32_e32 v70, v19, v83
	v_fmac_f32_e32 v70, v16, v84
	v_fmac_f32_e32 v70, v17, v85
	s_waitcnt lgkmcnt(1)
	v_fmac_f32_e32 v70, v28, v86
	;; [unrolled: 12-line block ×4, first 2 shown]
	v_fmac_f32_e32 v70, v43, v87
	v_fmac_f32_e32 v70, v40, v88
	;; [unrolled: 1-line block ×3, first 2 shown]
	ds_read_b128 v[78:81], v69 offset:416
	ds_read_b128 v[82:85], v69 offset:432
	s_waitcnt lgkmcnt(2)
	v_fmac_f32_e32 v70, v38, v74
	v_fmac_f32_e32 v70, v39, v75
	;; [unrolled: 1-line block ×4, first 2 shown]
	ds_read_b128 v[74:77], v69 offset:480
	s_waitcnt lgkmcnt(2)
	v_fmac_f32_e32 v70, v50, v78
	v_fmac_f32_e32 v70, v51, v79
	;; [unrolled: 1-line block ×3, first 2 shown]
	ds_read_b128 v[86:89], v69 offset:464
	v_fmac_f32_e32 v70, v49, v81
	ds_read_b128 v[78:81], v69 offset:496
	s_waitcnt lgkmcnt(2)
	v_pk_mul_f32 v[6:7], v[66:67], v[74:75]
	v_pk_mul_f32 v[8:9], v[64:65], v[76:77]
	ds_read_b128 v[74:77], v69 offset:448
	v_fmac_f32_e32 v70, v46, v82
	v_fmac_f32_e32 v70, v47, v83
	;; [unrolled: 1-line block ×4, first 2 shown]
	s_waitcnt lgkmcnt(0)
	v_fmac_f32_e32 v70, v60, v74
	v_fmac_f32_e32 v70, v61, v75
	;; [unrolled: 1-line block ×3, first 2 shown]
	v_pk_mul_f32 v[2:3], v[54:55], v[86:87]
	v_fmac_f32_e32 v70, v57, v77
	v_add_f32_e32 v2, v70, v2
	v_pk_mul_f32 v[4:5], v[52:53], v[88:89]
	v_add_f32_e32 v2, v2, v3
	v_add_f32_e32 v2, v2, v4
	;; [unrolled: 1-line block ×6, first 2 shown]
	v_pk_mul_f32 v[72:73], v[62:63], v[78:79]
	v_add_f32_e32 v2, v2, v9
	v_add_f32_e32 v2, v2, v72
	v_pk_mul_f32 v[78:79], v[58:59], v[80:81]
	v_add_f32_e32 v2, v2, v73
	v_add_f32_e32 v2, v2, v78
	;; [unrolled: 1-line block ×3, first 2 shown]
	v_lshl_add_u64 v[80:81], s[14:15], 0, v[0:1]
	v_lshl_add_u64 v[0:1], v[0:1], 0, s[12:13]
	v_mul_f32_e32 v2, s16, v2
	global_store_dword v[80:81], v2, off
	s_andn2_b64 exec, exec, s[0:1]
	s_cbranch_execnz .LBB0_2
; %bb.3:
	s_or_b64 exec, exec, s[0:1]
	scratch_load_dwordx2 v[2:3], off, off offset:12 ; 8-byte Folded Reload
.LBB0_4:
	s_or_b64 exec, exec, s[2:3]
	s_mul_i32 s0, s18, s17
	s_waitcnt vmcnt(0)
	v_add_u32_e32 v0, s0, v2
	v_ashrrev_i32_e32 v1, 31, v0
	v_lshl_add_u64 v[2:3], v[0:1], 2, s[14:15]
	global_store_dword v[2:3], v92, off
	global_store_dword v[2:3], v93, off offset:256
	global_store_dword v[2:3], v90, off offset:512
	;; [unrolled: 1-line block ×15, first 2 shown]
	v_add_u32_e32 v2, 0x400, v0
	v_ashrrev_i32_e32 v3, 31, v2
	v_lshl_add_u64 v[2:3], v[2:3], 2, s[14:15]
	global_store_dword v[2:3], v28, off
	v_add_u32_e32 v2, 0x440, v0
	v_ashrrev_i32_e32 v3, 31, v2
	v_lshl_add_u64 v[2:3], v[2:3], 2, s[14:15]
	global_store_dword v[2:3], v29, off
	;; [unrolled: 4-line block ×46, first 2 shown]
	v_add_u32_e32 v2, 0xf80, v0
	v_add_u32_e32 v0, 0xfc0, v0
	v_ashrrev_i32_e32 v3, 31, v2
	v_ashrrev_i32_e32 v1, 31, v0
	v_lshl_add_u64 v[2:3], v[2:3], 2, s[14:15]
	v_lshl_add_u64 v[0:1], v[0:1], 2, s[14:15]
	global_store_dword v[2:3], v58, off
	global_store_dword v[0:1], v59, off
	s_endpgm
	.section	.rodata,"a",@progbits
	.p2align	6, 0x0
	.amdhsa_kernel _ZL21gated_linear_attn_f32ILi64EEviiiifPKfS1_S1_S1_S1_Pf
		.amdhsa_group_segment_fixed_size 768
		.amdhsa_private_segment_fixed_size 24
		.amdhsa_kernarg_size 72
		.amdhsa_user_sgpr_count 2
		.amdhsa_user_sgpr_dispatch_ptr 0
		.amdhsa_user_sgpr_queue_ptr 0
		.amdhsa_user_sgpr_kernarg_segment_ptr 1
		.amdhsa_user_sgpr_dispatch_id 0
		.amdhsa_user_sgpr_kernarg_preload_length 0
		.amdhsa_user_sgpr_kernarg_preload_offset 0
		.amdhsa_user_sgpr_private_segment_size 0
		.amdhsa_uses_dynamic_stack 0
		.amdhsa_enable_private_segment 1
		.amdhsa_system_sgpr_workgroup_id_x 1
		.amdhsa_system_sgpr_workgroup_id_y 0
		.amdhsa_system_sgpr_workgroup_id_z 0
		.amdhsa_system_sgpr_workgroup_info 0
		.amdhsa_system_vgpr_workitem_id 0
		.amdhsa_next_free_vgpr 128
		.amdhsa_next_free_sgpr 20
		.amdhsa_accum_offset 128
		.amdhsa_reserve_vcc 1
		.amdhsa_float_round_mode_32 0
		.amdhsa_float_round_mode_16_64 0
		.amdhsa_float_denorm_mode_32 3
		.amdhsa_float_denorm_mode_16_64 3
		.amdhsa_dx10_clamp 1
		.amdhsa_ieee_mode 1
		.amdhsa_fp16_overflow 0
		.amdhsa_tg_split 0
		.amdhsa_exception_fp_ieee_invalid_op 0
		.amdhsa_exception_fp_denorm_src 0
		.amdhsa_exception_fp_ieee_div_zero 0
		.amdhsa_exception_fp_ieee_overflow 0
		.amdhsa_exception_fp_ieee_underflow 0
		.amdhsa_exception_fp_ieee_inexact 0
		.amdhsa_exception_int_div_zero 0
	.end_amdhsa_kernel
	.section	.text._ZL21gated_linear_attn_f32ILi64EEviiiifPKfS1_S1_S1_S1_Pf,"axG",@progbits,_ZL21gated_linear_attn_f32ILi64EEviiiifPKfS1_S1_S1_S1_Pf,comdat
.Lfunc_end0:
	.size	_ZL21gated_linear_attn_f32ILi64EEviiiifPKfS1_S1_S1_S1_Pf, .Lfunc_end0-_ZL21gated_linear_attn_f32ILi64EEviiiifPKfS1_S1_S1_S1_Pf
                                        ; -- End function
	.set _ZL21gated_linear_attn_f32ILi64EEviiiifPKfS1_S1_S1_S1_Pf.num_vgpr, 128
	.set _ZL21gated_linear_attn_f32ILi64EEviiiifPKfS1_S1_S1_S1_Pf.num_agpr, 0
	.set _ZL21gated_linear_attn_f32ILi64EEviiiifPKfS1_S1_S1_S1_Pf.numbered_sgpr, 20
	.set _ZL21gated_linear_attn_f32ILi64EEviiiifPKfS1_S1_S1_S1_Pf.num_named_barrier, 0
	.set _ZL21gated_linear_attn_f32ILi64EEviiiifPKfS1_S1_S1_S1_Pf.private_seg_size, 24
	.set _ZL21gated_linear_attn_f32ILi64EEviiiifPKfS1_S1_S1_S1_Pf.uses_vcc, 1
	.set _ZL21gated_linear_attn_f32ILi64EEviiiifPKfS1_S1_S1_S1_Pf.uses_flat_scratch, 0
	.set _ZL21gated_linear_attn_f32ILi64EEviiiifPKfS1_S1_S1_S1_Pf.has_dyn_sized_stack, 0
	.set _ZL21gated_linear_attn_f32ILi64EEviiiifPKfS1_S1_S1_S1_Pf.has_recursion, 0
	.set _ZL21gated_linear_attn_f32ILi64EEviiiifPKfS1_S1_S1_S1_Pf.has_indirect_call, 0
	.section	.AMDGPU.csdata,"",@progbits
; Kernel info:
; codeLenInByte = 4984
; TotalNumSgprs: 26
; NumVgprs: 128
; NumAgprs: 0
; TotalNumVgprs: 128
; ScratchSize: 24
; MemoryBound: 0
; FloatMode: 240
; IeeeMode: 1
; LDSByteSize: 768 bytes/workgroup (compile time only)
; SGPRBlocks: 3
; VGPRBlocks: 15
; NumSGPRsForWavesPerEU: 26
; NumVGPRsForWavesPerEU: 128
; AccumOffset: 128
; Occupancy: 4
; WaveLimiterHint : 1
; COMPUTE_PGM_RSRC2:SCRATCH_EN: 1
; COMPUTE_PGM_RSRC2:USER_SGPR: 2
; COMPUTE_PGM_RSRC2:TRAP_HANDLER: 0
; COMPUTE_PGM_RSRC2:TGID_X_EN: 1
; COMPUTE_PGM_RSRC2:TGID_Y_EN: 0
; COMPUTE_PGM_RSRC2:TGID_Z_EN: 0
; COMPUTE_PGM_RSRC2:TIDIG_COMP_CNT: 0
; COMPUTE_PGM_RSRC3_GFX90A:ACCUM_OFFSET: 31
; COMPUTE_PGM_RSRC3_GFX90A:TG_SPLIT: 0
	.section	.text._ZL21gated_linear_attn_f32ILi128EEviiiifPKfS1_S1_S1_S1_Pf,"axG",@progbits,_ZL21gated_linear_attn_f32ILi128EEviiiifPKfS1_S1_S1_S1_Pf,comdat
	.globl	_ZL21gated_linear_attn_f32ILi128EEviiiifPKfS1_S1_S1_S1_Pf ; -- Begin function _ZL21gated_linear_attn_f32ILi128EEviiiifPKfS1_S1_S1_S1_Pf
	.p2align	8
	.type	_ZL21gated_linear_attn_f32ILi128EEviiiifPKfS1_S1_S1_S1_Pf,@function
_ZL21gated_linear_attn_f32ILi128EEviiiifPKfS1_S1_S1_S1_Pf: ; @_ZL21gated_linear_attn_f32ILi128EEviiiifPKfS1_S1_S1_S1_Pf
; %bb.0:
	s_load_dwordx4 s[16:19], s[0:1], 0x0
	s_load_dwordx4 s[12:15], s[0:1], 0x38
	v_mov_b32_e32 v119, v0
	s_abs_i32 s4, s2
	s_waitcnt lgkmcnt(0)
	s_abs_i32 s5, s19
	v_cvt_f32_u32_e32 v0, s5
	s_sub_i32 s6, 0, s5
	s_xor_b32 s3, s2, s19
	s_ashr_i32 s3, s3, 31
	v_rcp_iflag_f32_e32 v0, v0
	s_nop 0
	v_mul_f32_e32 v0, 0x4f7ffffe, v0
	v_cvt_u32_f32_e32 v0, v0
	s_nop 0
	v_readfirstlane_b32 s7, v0
	s_mul_i32 s6, s6, s7
	s_mul_hi_u32 s6, s7, s6
	s_add_i32 s7, s7, s6
	s_mul_hi_u32 s6, s4, s7
	s_mul_i32 s7, s6, s5
	s_sub_i32 s4, s4, s7
	s_add_i32 s7, s6, 1
	s_sub_i32 s8, s4, s5
	s_cmp_ge_u32 s4, s5
	s_cselect_b32 s6, s7, s6
	s_cselect_b32 s4, s8, s4
	s_add_i32 s7, s6, 1
	s_cmp_ge_u32 s4, s5
	s_cselect_b32 s4, s7, s6
	s_xor_b32 s4, s4, s3
	s_sub_i32 s3, s4, s3
	s_mul_i32 s4, s3, s19
	s_sub_i32 s2, s2, s4
	s_mul_i32 s4, s18, s3
	s_lshl_b32 s4, s4, 7
	s_lshl_b32 s5, s2, 14
	s_add_i32 s5, s5, s4
	v_add_u32_e32 v2, s5, v119
	v_ashrrev_i32_e32 v3, 31, v2
	v_lshl_add_u64 v[0:1], v[2:3], 2, s[12:13]
	global_load_dword v74, v[0:1], off
	global_load_dword v75, v[0:1], off offset:512
	global_load_dword v26, v[0:1], off offset:1024
	;; [unrolled: 1-line block ×7, first 2 shown]
	v_add_u32_e32 v0, 0x400, v2
	v_ashrrev_i32_e32 v1, 31, v0
	v_lshl_add_u64 v[0:1], v[0:1], 2, s[12:13]
	global_load_dword v86, v[0:1], off
	v_add_u32_e32 v0, 0x480, v2
	v_ashrrev_i32_e32 v1, 31, v0
	v_lshl_add_u64 v[0:1], v[0:1], 2, s[12:13]
	global_load_dword v87, v[0:1], off
	;; [unrolled: 4-line block ×36, first 2 shown]
	v_add_u32_e32 v0, 0x1600, v2
	v_ashrrev_i32_e32 v1, 31, v0
	v_lshl_add_u64 v[0:1], v[0:1], 2, s[12:13]
	s_abs_i32 s6, s16
	s_sub_i32 s7, 0, s6
	s_abs_i32 s5, s17
	s_xor_b32 s4, s17, s16
	s_ashr_i32 s4, s4, 31
	s_waitcnt vmcnt(14)
	scratch_store_dwordx2 off, v[4:5], off offset:176 ; 8-byte Folded Spill
	global_load_dword v4, v[0:1], off
	v_add_u32_e32 v0, 0x1680, v2
	v_ashrrev_i32_e32 v1, 31, v0
	v_lshl_add_u64 v[0:1], v[0:1], 2, s[12:13]
	global_load_dword v5, v[0:1], off
	v_add_u32_e32 v0, 0x1700, v2
	v_ashrrev_i32_e32 v1, 31, v0
	v_lshl_add_u64 v[0:1], v[0:1], 2, s[12:13]
	;; [unrolled: 4-line block ×22, first 2 shown]
	s_waitcnt vmcnt(20)
	scratch_store_dwordx2 off, v[4:5], off offset:160 ; 8-byte Folded Spill
	global_load_dword v4, v[0:1], off
	v_add_u32_e32 v0, 0x2180, v2
	v_ashrrev_i32_e32 v1, 31, v0
	v_lshl_add_u64 v[0:1], v[0:1], 2, s[12:13]
	global_load_dword v5, v[0:1], off
	v_add_u32_e32 v0, 0x2200, v2
	v_ashrrev_i32_e32 v1, 31, v0
	v_lshl_add_u64 v[0:1], v[0:1], 2, s[12:13]
	;; [unrolled: 4-line block ×20, first 2 shown]
	s_waitcnt vmcnt(8)
	scratch_store_dwordx2 off, v[6:7], off offset:8 ; 8-byte Folded Spill
	global_load_dword v6, v[0:1], off
	v_add_u32_e32 v0, 0x2b80, v2
	v_ashrrev_i32_e32 v1, 31, v0
	v_lshl_add_u64 v[0:1], v[0:1], 2, s[12:13]
	global_load_dword v7, v[0:1], off
	v_add_u32_e32 v0, 0x2c00, v2
	v_ashrrev_i32_e32 v1, 31, v0
	v_lshl_add_u64 v[0:1], v[0:1], 2, s[12:13]
	;; [unrolled: 4-line block ×8, first 2 shown]
	s_waitcnt vmcnt(6)
	scratch_store_dwordx2 off, v[6:7], off  ; 8-byte Folded Spill
	global_load_dword v6, v[0:1], off
	v_add_u32_e32 v0, 0x2f80, v2
	v_ashrrev_i32_e32 v1, 31, v0
	v_lshl_add_u64 v[0:1], v[0:1], 2, s[12:13]
	global_load_dword v7, v[0:1], off
	v_add_u32_e32 v0, 0x3000, v2
	v_ashrrev_i32_e32 v1, 31, v0
	v_lshl_add_u64 v[0:1], v[0:1], 2, s[12:13]
	;; [unrolled: 4-line block ×10, first 2 shown]
	s_waitcnt vmcnt(8)
	scratch_store_dwordx2 off, v[6:7], off offset:168 ; 8-byte Folded Spill
	global_load_dword v6, v[0:1], off
	v_add_u32_e32 v0, 0x3480, v2
	v_ashrrev_i32_e32 v1, 31, v0
	v_lshl_add_u64 v[0:1], v[0:1], 2, s[12:13]
	global_load_dword v7, v[0:1], off
	v_add_u32_e32 v0, 0x3500, v2
	v_ashrrev_i32_e32 v1, 31, v0
	v_lshl_add_u64 v[0:1], v[0:1], 2, s[12:13]
	;; [unrolled: 4-line block ×12, first 2 shown]
	s_waitcnt vmcnt(10)
	scratch_store_dwordx2 off, v[6:7], off offset:32 ; 8-byte Folded Spill
	global_load_dword v6, v[0:1], off
	v_add_u32_e32 v0, 0x3a80, v2
	v_ashrrev_i32_e32 v1, 31, v0
	v_lshl_add_u64 v[0:1], v[0:1], 2, s[12:13]
	global_load_dword v7, v[0:1], off
	v_add_u32_e32 v0, 0x3b00, v2
	v_ashrrev_i32_e32 v1, 31, v0
	v_lshl_add_u64 v[0:1], v[0:1], 2, s[12:13]
	;; [unrolled: 4-line block ×8, first 2 shown]
	s_waitcnt vmcnt(2)
	scratch_store_dwordx2 off, v[10:11], off offset:16 ; 8-byte Folded Spill
	global_load_dword v10, v[0:1], off
	v_add_u32_e32 v0, 0x3e80, v2
	v_ashrrev_i32_e32 v1, 31, v0
	v_lshl_add_u64 v[0:1], v[0:1], 2, s[12:13]
	global_load_dword v11, v[0:1], off
	v_add_u32_e32 v0, 0x3f00, v2
	v_ashrrev_i32_e32 v1, 31, v0
	v_lshl_add_u64 v[0:1], v[0:1], 2, s[12:13]
	;; [unrolled: 4-line block ×3, first 2 shown]
	global_load_dword v19, v[0:1], off
	v_cvt_f32_u32_e32 v0, s6
	v_rcp_iflag_f32_e32 v0, v0
	s_nop 0
	v_mul_f32_e32 v0, 0x4f7ffffe, v0
	v_cvt_u32_f32_e32 v0, v0
	s_waitcnt vmcnt(2)
	scratch_store_dwordx2 off, v[10:11], off offset:24 ; 8-byte Folded Spill
	v_readfirstlane_b32 s8, v0
	s_mul_i32 s7, s7, s8
	s_mul_hi_u32 s7, s8, s7
	s_add_i32 s8, s8, s7
	s_mul_hi_u32 s7, s5, s8
	s_mul_i32 s8, s7, s6
	s_sub_i32 s5, s5, s8
	s_add_i32 s8, s7, 1
	s_sub_i32 s9, s5, s6
	s_cmp_ge_u32 s5, s6
	s_cselect_b32 s7, s8, s7
	s_cselect_b32 s5, s9, s5
	s_add_i32 s8, s7, 1
	s_cmp_ge_u32 s5, s6
	s_cselect_b32 s5, s8, s7
	s_xor_b32 s5, s5, s4
	s_sub_i32 s4, s5, s4
	s_mul_i32 s4, s4, s18
	s_mul_i32 s5, s4, s3
	s_add_i32 s3, s3, 1
	v_lshl_add_u32 v0, s2, 7, v119
	s_mul_i32 s4, s4, s3
	v_add_u32_e32 v118, s5, v0
	v_add_u32_e32 v0, s4, v0
	v_cmp_lt_i32_e32 vcc, v118, v0
	s_and_saveexec_b64 s[2:3], vcc
	s_cbranch_execz .LBB1_4
; %bb.1:
	scratch_store_dwordx2 off, v[2:3], off offset:248 ; 8-byte Folded Spill
	v_lshlrev_b32_e32 v1, 2, v119
	s_load_dword s16, s[0:1], 0x10
	s_load_dwordx8 s[4:11], s[0:1], 0x18
	scratch_store_dword off, v1, off offset:244 ; 4-byte Folded Spill
	scratch_store_dwordx2 off, v[106:107], off offset:120 ; 8-byte Folded Spill
	scratch_store_dwordx2 off, v[50:51], off offset:80 ; 8-byte Folded Spill
	;; [unrolled: 1-line block ×8, first 2 shown]
	v_mov_b64_e32 v[98:99], v[96:97]
	scratch_store_dwordx2 off, v[20:21], off offset:64 ; 8-byte Folded Spill
	v_mov_b64_e32 v[96:97], v[64:65]
	v_mov_b64_e32 v[2:3], v[38:39]
	;; [unrolled: 1-line block ×4, first 2 shown]
	scratch_load_dwordx2 v[70:71], off, off offset:176 ; 8-byte Folded Reload
	scratch_load_dwordx2 v[64:65], off, off offset:160 ; 8-byte Folded Reload
	;; [unrolled: 1-line block ×4, first 2 shown]
	v_ashrrev_i32_e32 v119, 31, v118
	v_mov_b64_e32 v[124:125], v[82:83]
	scratch_store_dwordx2 off, v[14:15], off offset:40 ; 8-byte Folded Spill
	v_mov_b64_e32 v[14:15], v[30:31]
	s_ashr_i32 s19, s18, 31
	v_mov_b64_e32 v[74:75], v[48:49]
	v_mov_b64_e32 v[48:49], v[80:81]
	v_mov_b64_e32 v[82:83], v[88:89]
	scratch_store_dwordx2 off, v[40:41], off offset:48 ; 8-byte Folded Spill
	v_lshlrev_b64 v[30:31], 2, v[118:119]
	s_lshl_b64 s[12:13], s[18:19], 2
	s_mov_b64 s[0:1], 0
	v_mov_b32_e32 v119, 0
	v_mov_b64_e32 v[88:89], v[14:15]
	v_mov_b64_e32 v[40:41], v[98:99]
	;; [unrolled: 1-line block ×8, first 2 shown]
	scratch_store_dwordx2 off, v[66:67], off offset:56 ; 8-byte Folded Spill
	scratch_store_dword off, v0, off offset:240 ; 4-byte Folded Spill
.LBB1_2:                                ; =>This Inner Loop Header: Depth=1
	s_waitcnt lgkmcnt(0)
	v_lshl_add_u64 v[0:1], s[4:5], 0, v[30:31]
	scratch_store_dwordx2 off, v[30:31], off offset:8 ; 8-byte Folded Spill
	s_barrier
	global_load_dword v2, v[0:1], off
	v_lshl_add_u64 v[0:1], s[8:9], 0, v[30:31]
	global_load_dword v3, v[0:1], off
	v_lshl_add_u64 v[0:1], s[10:11], 0, v[30:31]
	global_load_dword v0, v[0:1], off
	s_nop 0
	scratch_load_dword v4, off, off offset:244 ; 4-byte Folded Reload
	v_add_u32_e32 v118, s18, v118
	s_waitcnt vmcnt(0)
	v_add_u32_e32 v1, 0x200, v4
	ds_write_b32 v1, v3
	v_add_u32_e32 v1, 0x400, v4
	ds_write_b32 v4, v2
	ds_write_b32 v1, v0
	s_waitcnt lgkmcnt(0)
	s_barrier
	scratch_load_dwordx2 v[30:31], off, off offset:104 ; 8-byte Folded Reload
	ds_read_b128 v[0:3], v119 offset:1024
	v_mov_b64_e32 v[4:5], v[18:19]
	ds_read_b128 v[16:19], v119 offset:1040
	s_waitcnt lgkmcnt(1)
	v_pk_mul_f32 v[10:11], v[26:27], v[2:3]
	s_waitcnt lgkmcnt(0)
	v_pk_mul_f32 v[42:43], v[42:43], v[16:17]
	s_waitcnt vmcnt(0)
	v_pk_mul_f32 v[0:1], v[30:31], v[0:1]
	scratch_store_dwordx2 off, v[0:1], off offset:104 ; 8-byte Folded Spill
	scratch_load_dwordx2 v[0:1], off, off offset:96 ; 8-byte Folded Reload
	s_waitcnt vmcnt(0)
	v_pk_mul_f32 v[0:1], v[0:1], v[18:19]
	scratch_store_dwordx2 off, v[0:1], off offset:96 ; 8-byte Folded Spill
	ds_read_b128 v[0:3], v119 offset:1056
	ds_read_b128 v[16:19], v119 offset:1072
	s_waitcnt lgkmcnt(1)
	v_pk_mul_f32 v[0:1], v[86:87], v[0:1]
	scratch_store_dwordx2 off, v[0:1], off offset:136 ; 8-byte Folded Spill
	v_pk_mul_f32 v[0:1], v[104:105], v[2:3]
	scratch_store_dwordx2 off, v[0:1], off offset:144 ; 8-byte Folded Spill
	s_waitcnt lgkmcnt(0)
	v_pk_mul_f32 v[0:1], v[120:121], v[16:17]
	scratch_store_dwordx2 off, v[0:1], off offset:152 ; 8-byte Folded Spill
	scratch_load_dwordx2 v[0:1], off, off offset:80 ; 8-byte Folded Reload
	s_waitcnt vmcnt(0)
	v_pk_mul_f32 v[0:1], v[0:1], v[18:19]
	scratch_store_dwordx2 off, v[0:1], off offset:80 ; 8-byte Folded Spill
	ds_read_b128 v[0:3], v119 offset:1088
	ds_read_b128 v[16:19], v119 offset:1104
	s_waitcnt lgkmcnt(1)
	v_pk_mul_f32 v[0:1], v[108:109], v[0:1]
	scratch_store_dwordx2 off, v[0:1], off offset:192 ; 8-byte Folded Spill
	v_pk_mul_f32 v[0:1], v[110:111], v[2:3]
	scratch_store_dwordx2 off, v[0:1], off offset:200 ; 8-byte Folded Spill
	s_waitcnt lgkmcnt(0)
	v_pk_mul_f32 v[120:121], v[114:115], v[16:17]
	v_pk_mul_f32 v[114:115], v[74:75], v[18:19]
	ds_read_b128 v[0:3], v119 offset:1120
	ds_read_b128 v[16:19], v119 offset:1136
	s_waitcnt lgkmcnt(1)
	v_pk_mul_f32 v[106:107], v[100:101], v[0:1]
	v_pk_mul_f32 v[0:1], v[116:117], v[2:3]
	scratch_store_dwordx2 off, v[0:1], off offset:160 ; 8-byte Folded Spill
	s_waitcnt lgkmcnt(0)
	v_pk_mul_f32 v[74:75], v[70:71], v[16:17]
	v_pk_mul_f32 v[72:73], v[88:89], v[18:19]
	ds_read_b128 v[0:3], v119 offset:1152
	ds_read_b128 v[16:19], v119 offset:1168
	s_waitcnt lgkmcnt(1)
	v_pk_mul_f32 v[116:117], v[92:93], v[0:1]
	v_pk_mul_f32 v[0:1], v[40:41], v[2:3]
	scratch_store_dwordx2 off, v[0:1], off offset:168 ; 8-byte Folded Spill
	scratch_load_dwordx2 v[0:1], off, off offset:88 ; 8-byte Folded Reload
	s_waitcnt vmcnt(0) lgkmcnt(0)
	v_pk_mul_f32 v[0:1], v[0:1], v[16:17]
	scratch_store_dwordx2 off, v[0:1], off offset:88 ; 8-byte Folded Spill
	scratch_load_dwordx2 v[0:1], off, off offset:128 ; 8-byte Folded Reload
	s_waitcnt vmcnt(0)
	v_pk_mul_f32 v[0:1], v[0:1], v[18:19]
	scratch_store_dwordx2 off, v[0:1], off offset:128 ; 8-byte Folded Spill
	ds_read_b128 v[0:3], v119 offset:1184
	ds_read_b128 v[16:19], v119 offset:1200
	s_waitcnt lgkmcnt(1)
	v_pk_mul_f32 v[108:109], v[84:85], v[0:1]
	s_waitcnt lgkmcnt(0)
	v_pk_mul_f32 v[0:1], v[62:63], v[18:19]
	scratch_store_dwordx2 off, v[0:1], off offset:184 ; 8-byte Folded Spill
	v_pk_mul_f32 v[90:91], v[90:91], v[2:3]
	v_pk_mul_f32 v[64:65], v[64:65], v[16:17]
	ds_read_b128 v[0:3], v119 offset:1216
	ds_read_b128 v[16:19], v119 offset:1232
	s_waitcnt lgkmcnt(1)
	v_pk_mul_f32 v[100:101], v[76:77], v[0:1]
	scratch_load_dwordx2 v[0:1], off, off offset:120 ; 8-byte Folded Reload
	v_pk_mul_f32 v[62:63], v[14:15], v[2:3]
	s_waitcnt lgkmcnt(0)
	v_pk_mul_f32 v[98:99], v[96:97], v[18:19]
	s_waitcnt vmcnt(0)
	v_pk_mul_f32 v[50:51], v[0:1], v[16:17]
	ds_read_b128 v[0:3], v119 offset:1248
	ds_read_b128 v[16:19], v119 offset:1264
	s_waitcnt lgkmcnt(1)
	v_pk_mul_f32 v[92:93], v[68:69], v[0:1]
	scratch_load_dwordx2 v[0:1], off, off offset:112 ; 8-byte Folded Reload
	s_waitcnt lgkmcnt(0)
	v_pk_mul_f32 v[80:81], v[80:81], v[16:17]
	v_pk_mul_f32 v[56:57], v[56:57], v[18:19]
	s_waitcnt vmcnt(0)
	v_pk_mul_f32 v[86:87], v[0:1], v[2:3]
	ds_read_b128 v[0:3], v119 offset:1280
	ds_read_b128 v[16:19], v119 offset:1296
	s_waitcnt lgkmcnt(1)
	v_pk_mul_f32 v[84:85], v[60:61], v[0:1]
	scratch_load_dwordx2 v[0:1], off, off offset:72 ; 8-byte Folded Reload
	s_waitcnt lgkmcnt(0)
	v_pk_mul_f32 v[76:77], v[126:127], v[18:19]
	s_waitcnt vmcnt(0)
	v_pk_mul_f32 v[0:1], v[0:1], v[2:3]
	scratch_store_dwordx2 off, v[0:1], off offset:72 ; 8-byte Folded Spill
	v_pk_mul_f32 v[0:1], v[124:125], v[16:17]
	scratch_store_dwordx2 off, v[0:1], off offset:112 ; 8-byte Folded Spill
	ds_read_b128 v[0:3], v119 offset:1312
	ds_read_b128 v[16:19], v119 offset:1328
	s_waitcnt lgkmcnt(1)
	v_pk_mul_f32 v[104:105], v[52:53], v[0:1]
	v_pk_mul_f32 v[0:1], v[12:13], v[2:3]
	scratch_store_dwordx2 off, v[0:1], off offset:120 ; 8-byte Folded Spill
	s_waitcnt lgkmcnt(0)
	v_pk_mul_f32 v[68:69], v[20:21], v[16:17]
	v_pk_mul_f32 v[58:59], v[58:59], v[18:19]
	ds_read_b128 v[0:3], v119 offset:1344
	ds_read_b128 v[16:19], v119 offset:1360
	v_mov_b64_e32 v[20:21], v[48:49]
	s_waitcnt lgkmcnt(1)
	v_pk_mul_f32 v[66:67], v[44:45], v[0:1]
	v_pk_mul_f32 v[0:1], v[46:47], v[2:3]
	scratch_store_dwordx2 off, v[0:1], off offset:176 ; 8-byte Folded Spill
	scratch_load_dwordx2 v[0:1], off, off offset:64 ; 8-byte Folded Reload
	s_waitcnt vmcnt(0) lgkmcnt(0)
	v_pk_mul_f32 v[126:127], v[0:1], v[16:17]
	scratch_load_dwordx2 v[0:1], off, off   ; 8-byte Folded Reload
	s_waitcnt vmcnt(0)
	v_pk_mul_f32 v[0:1], v[0:1], v[18:19]
	scratch_store_dwordx2 off, v[0:1], off  ; 8-byte Folded Spill
	ds_read_b128 v[0:3], v119 offset:1376
	ds_read_b128 v[16:19], v119 offset:1392
	s_waitcnt lgkmcnt(1)
	v_pk_mul_f32 v[60:61], v[36:37], v[0:1]
	scratch_load_dwordx2 v[0:1], off, off offset:40 ; 8-byte Folded Reload
	s_waitcnt vmcnt(0)
	v_pk_mul_f32 v[0:1], v[0:1], v[2:3]
	scratch_store_dwordx2 off, v[0:1], off offset:40 ; 8-byte Folded Spill
	scratch_load_dwordx2 v[0:1], off, off offset:48 ; 8-byte Folded Reload
	s_waitcnt vmcnt(0) lgkmcnt(0)
	v_pk_mul_f32 v[40:41], v[0:1], v[16:17]
	v_pk_mul_f32 v[0:1], v[102:103], v[18:19]
	scratch_store_dwordx2 off, v[0:1], off offset:48 ; 8-byte Folded Spill
	ds_read_b128 v[0:3], v119 offset:1408
	ds_read_b128 v[16:19], v119 offset:1424
	s_waitcnt lgkmcnt(1)
	v_pk_mul_f32 v[52:53], v[28:29], v[0:1]
	v_pk_mul_f32 v[30:31], v[32:33], v[2:3]
	s_waitcnt lgkmcnt(0)
	v_pk_mul_f32 v[32:33], v[34:35], v[16:17]
	v_pk_mul_f32 v[34:35], v[22:23], v[18:19]
	ds_read_b128 v[0:3], v119 offset:1440
	ds_read_b128 v[16:19], v119 offset:1456
	scratch_load_dwordx2 v[12:13], off, off offset:32 ; 8-byte Folded Reload
	s_waitcnt lgkmcnt(1)
	v_pk_mul_f32 v[22:23], v[94:95], v[2:3]
	s_waitcnt lgkmcnt(0)
	v_pk_mul_f32 v[26:27], v[78:79], v[16:17]
	v_pk_mul_f32 v[94:95], v[38:39], v[18:19]
	s_waitcnt vmcnt(0)
	v_pk_mul_f32 v[44:45], v[12:13], v[0:1]
	ds_read_b128 v[0:3], v119 offset:1472
	ds_read_b128 v[16:19], v119 offset:1488
	scratch_load_dwordx2 v[12:13], off, off offset:56 ; 8-byte Folded Reload
	s_waitcnt lgkmcnt(1)
	v_pk_mul_f32 v[38:39], v[82:83], v[2:3]
	s_waitcnt lgkmcnt(0)
	v_pk_mul_f32 v[110:111], v[6:7], v[16:17]
	v_pk_mul_f32 v[36:37], v[8:9], v[18:19]
	s_waitcnt vmcnt(0)
	v_pk_mul_f32 v[48:49], v[12:13], v[0:1]
	ds_read_b128 v[0:3], v119 offset:1504
	ds_read_b128 v[6:9], v119 offset:1520
	scratch_load_dwordx2 v[12:13], off, off offset:16 ; 8-byte Folded Reload
	s_waitcnt lgkmcnt(1)
	v_pk_mul_f32 v[88:89], v[20:21], v[2:3]
	s_waitcnt vmcnt(0)
	v_pk_mul_f32 v[28:29], v[12:13], v[0:1]
	scratch_load_dwordx2 v[0:1], off, off offset:24 ; 8-byte Folded Reload
	s_waitcnt lgkmcnt(0)
	v_pk_mul_f32 v[12:13], v[4:5], v[8:9]
	s_waitcnt vmcnt(0)
	v_pk_mul_f32 v[46:47], v[0:1], v[6:7]
	scratch_load_dwordx2 v[0:1], off, off offset:8 ; 8-byte Folded Reload
	s_waitcnt vmcnt(0)
	v_lshl_add_u64 v[0:1], s[6:7], 0, v[0:1]
	global_load_dword v124, v[0:1], off
	ds_read_b128 v[0:3], v119
	ds_read_b128 v[4:7], v119 offset:16
	scratch_load_dwordx2 v[8:9], off, off offset:104 ; 8-byte Folded Reload
	s_waitcnt vmcnt(1) lgkmcnt(1)
	v_pk_fma_f32 v[54:55], v[124:125], v[2:3], v[10:11] op_sel_hi:[0,1,1]
	s_waitcnt lgkmcnt(0)
	v_pk_fma_f32 v[42:43], v[124:125], v[4:5], v[42:43] op_sel_hi:[0,1,1]
	s_waitcnt vmcnt(0)
	v_pk_fma_f32 v[8:9], v[124:125], v[0:1], v[8:9] op_sel_hi:[0,1,1]
	scratch_load_dwordx2 v[0:1], off, off offset:96 ; 8-byte Folded Reload
	s_waitcnt vmcnt(0)
	v_pk_fma_f32 v[10:11], v[124:125], v[6:7], v[0:1] op_sel_hi:[0,1,1]
	ds_read_b128 v[0:3], v119 offset:32
	ds_read_b128 v[4:7], v119 offset:48
	scratch_load_dwordx2 v[14:15], off, off offset:136 ; 8-byte Folded Reload
	s_waitcnt vmcnt(0) lgkmcnt(1)
	v_pk_fma_f32 v[78:79], v[124:125], v[0:1], v[14:15] op_sel_hi:[0,1,1]
	scratch_load_dwordx2 v[0:1], off, off offset:144 ; 8-byte Folded Reload
	s_waitcnt vmcnt(0)
	v_pk_fma_f32 v[112:113], v[124:125], v[2:3], v[0:1] op_sel_hi:[0,1,1]
	scratch_load_dwordx2 v[0:1], off, off offset:152 ; 8-byte Folded Reload
	s_waitcnt vmcnt(0) lgkmcnt(0)
	v_pk_fma_f32 v[122:123], v[124:125], v[4:5], v[0:1] op_sel_hi:[0,1,1]
	scratch_load_dwordx2 v[0:1], off, off offset:80 ; 8-byte Folded Reload
	s_waitcnt vmcnt(0)
	v_pk_fma_f32 v[24:25], v[124:125], v[6:7], v[0:1] op_sel_hi:[0,1,1]
	ds_read_b128 v[0:3], v119 offset:64
	ds_read_b128 v[4:7], v119 offset:80
	scratch_load_dwordx2 v[14:15], off, off offset:192 ; 8-byte Folded Reload
	s_waitcnt vmcnt(0) lgkmcnt(1)
	v_pk_fma_f32 v[0:1], v[124:125], v[0:1], v[14:15] op_sel_hi:[0,1,1]
	scratch_store_dwordx2 off, v[0:1], off offset:232 ; 8-byte Folded Spill
	scratch_load_dwordx2 v[0:1], off, off offset:200 ; 8-byte Folded Reload
	s_waitcnt lgkmcnt(0)
	v_pk_fma_f32 v[14:15], v[124:125], v[4:5], v[120:121] op_sel_hi:[0,1,1]
	s_waitcnt vmcnt(0)
	v_pk_fma_f32 v[0:1], v[124:125], v[2:3], v[0:1] op_sel_hi:[0,1,1]
	scratch_store_dwordx2 off, v[0:1], off offset:224 ; 8-byte Folded Spill
	v_pk_fma_f32 v[0:1], v[124:125], v[6:7], v[114:115] op_sel_hi:[0,1,1]
	scratch_store_dwordx2 off, v[0:1], off offset:200 ; 8-byte Folded Spill
	ds_read_b128 v[0:3], v119 offset:96
	ds_read_b128 v[4:7], v119 offset:112
	s_waitcnt lgkmcnt(1)
	v_pk_fma_f32 v[0:1], v[124:125], v[0:1], v[106:107] op_sel_hi:[0,1,1]
	scratch_store_dwordx2 off, v[0:1], off offset:192 ; 8-byte Folded Spill
	scratch_load_dwordx2 v[0:1], off, off offset:160 ; 8-byte Folded Reload
	s_waitcnt lgkmcnt(0)
	v_pk_fma_f32 v[120:121], v[124:125], v[4:5], v[74:75] op_sel_hi:[0,1,1]
	v_pk_fma_f32 v[70:71], v[124:125], v[6:7], v[72:73] op_sel_hi:[0,1,1]
	s_waitcnt vmcnt(0)
	v_pk_fma_f32 v[0:1], v[124:125], v[2:3], v[0:1] op_sel_hi:[0,1,1]
	scratch_store_dwordx2 off, v[0:1], off offset:152 ; 8-byte Folded Spill
	ds_read_b128 v[0:3], v119 offset:128
	ds_read_b128 v[4:7], v119 offset:144
	s_waitcnt lgkmcnt(1)
	v_pk_fma_f32 v[116:117], v[124:125], v[0:1], v[116:117] op_sel_hi:[0,1,1]
	scratch_load_dwordx2 v[0:1], off, off offset:168 ; 8-byte Folded Reload
	s_waitcnt vmcnt(0)
	v_pk_fma_f32 v[106:107], v[124:125], v[2:3], v[0:1] op_sel_hi:[0,1,1]
	scratch_load_dwordx2 v[0:1], off, off offset:88 ; 8-byte Folded Reload
	s_waitcnt vmcnt(0) lgkmcnt(0)
	v_pk_fma_f32 v[102:103], v[124:125], v[4:5], v[0:1] op_sel_hi:[0,1,1]
	scratch_load_dwordx2 v[0:1], off, off offset:128 ; 8-byte Folded Reload
	s_waitcnt vmcnt(0)
	v_pk_fma_f32 v[114:115], v[124:125], v[6:7], v[0:1] op_sel_hi:[0,1,1]
	ds_read_b128 v[0:3], v119 offset:160
	ds_read_b128 v[4:7], v119 offset:176
	s_waitcnt lgkmcnt(1)
	v_pk_fma_f32 v[108:109], v[124:125], v[0:1], v[108:109] op_sel_hi:[0,1,1]
	scratch_load_dwordx2 v[0:1], off, off offset:184 ; 8-byte Folded Reload
	v_pk_fma_f32 v[74:75], v[124:125], v[2:3], v[90:91] op_sel_hi:[0,1,1]
	s_waitcnt lgkmcnt(0)
	v_pk_fma_f32 v[64:65], v[124:125], v[4:5], v[64:65] op_sel_hi:[0,1,1]
	s_waitcnt vmcnt(0)
	v_pk_fma_f32 v[72:73], v[124:125], v[6:7], v[0:1] op_sel_hi:[0,1,1]
	ds_read_b128 v[0:3], v119 offset:192
	ds_read_b128 v[4:7], v119 offset:208
	s_waitcnt lgkmcnt(1)
	v_pk_fma_f32 v[100:101], v[124:125], v[0:1], v[100:101] op_sel_hi:[0,1,1]
	v_pk_fma_f32 v[62:63], v[124:125], v[2:3], v[62:63] op_sel_hi:[0,1,1]
	s_waitcnt lgkmcnt(0)
	v_pk_fma_f32 v[96:97], v[124:125], v[4:5], v[50:51] op_sel_hi:[0,1,1]
	v_pk_fma_f32 v[98:99], v[124:125], v[6:7], v[98:99] op_sel_hi:[0,1,1]
	ds_read_b128 v[0:3], v119 offset:224
	ds_read_b128 v[4:7], v119 offset:240
	s_waitcnt lgkmcnt(1)
	v_pk_fma_f32 v[92:93], v[124:125], v[0:1], v[92:93] op_sel_hi:[0,1,1]
	v_pk_fma_f32 v[86:87], v[124:125], v[2:3], v[86:87] op_sel_hi:[0,1,1]
	s_waitcnt lgkmcnt(0)
	v_pk_fma_f32 v[80:81], v[124:125], v[4:5], v[80:81] op_sel_hi:[0,1,1]
	v_pk_fma_f32 v[56:57], v[124:125], v[6:7], v[56:57] op_sel_hi:[0,1,1]
	ds_read_b128 v[0:3], v119 offset:256
	ds_read_b128 v[4:7], v119 offset:272
	s_waitcnt lgkmcnt(1)
	v_pk_fma_f32 v[84:85], v[124:125], v[0:1], v[84:85] op_sel_hi:[0,1,1]
	scratch_load_dwordx2 v[0:1], off, off offset:72 ; 8-byte Folded Reload
	s_waitcnt lgkmcnt(0)
	v_pk_fma_f32 v[50:51], v[124:125], v[6:7], v[76:77] op_sel_hi:[0,1,1]
	s_waitcnt vmcnt(0)
	v_pk_fma_f32 v[82:83], v[124:125], v[2:3], v[0:1] op_sel_hi:[0,1,1]
	scratch_load_dwordx2 v[0:1], off, off offset:112 ; 8-byte Folded Reload
	s_waitcnt vmcnt(0)
	v_pk_fma_f32 v[90:91], v[124:125], v[4:5], v[0:1] op_sel_hi:[0,1,1]
	ds_read_b128 v[0:3], v119 offset:288
	ds_read_b128 v[4:7], v119 offset:304
	s_waitcnt lgkmcnt(1)
	v_pk_fma_f32 v[76:77], v[124:125], v[0:1], v[104:105] op_sel_hi:[0,1,1]
	scratch_load_dwordx2 v[0:1], off, off offset:120 ; 8-byte Folded Reload
	s_waitcnt lgkmcnt(0)
	v_pk_fma_f32 v[20:21], v[124:125], v[4:5], v[68:69] op_sel_hi:[0,1,1]
	v_pk_fma_f32 v[58:59], v[124:125], v[6:7], v[58:59] op_sel_hi:[0,1,1]
	s_waitcnt vmcnt(0)
	v_pk_fma_f32 v[104:105], v[124:125], v[2:3], v[0:1] op_sel_hi:[0,1,1]
	ds_read_b128 v[0:3], v119 offset:320
	ds_read_b128 v[4:7], v119 offset:336
	s_waitcnt lgkmcnt(1)
	v_pk_fma_f32 v[68:69], v[124:125], v[0:1], v[66:67] op_sel_hi:[0,1,1]
	scratch_load_dwordx2 v[0:1], off, off offset:176 ; 8-byte Folded Reload
	s_waitcnt lgkmcnt(0)
	v_pk_fma_f32 v[126:127], v[124:125], v[4:5], v[126:127] op_sel_hi:[0,1,1]
	s_waitcnt vmcnt(0)
	v_pk_fma_f32 v[66:67], v[124:125], v[2:3], v[0:1] op_sel_hi:[0,1,1]
	scratch_load_dwordx2 v[0:1], off, off   ; 8-byte Folded Reload
	s_waitcnt vmcnt(0)
	v_pk_fma_f32 v[0:1], v[124:125], v[6:7], v[0:1] op_sel_hi:[0,1,1]
	scratch_store_dwordx2 off, v[0:1], off  ; 8-byte Folded Spill
	ds_read_b128 v[0:3], v119 offset:352
	ds_read_b128 v[4:7], v119 offset:368
	s_waitcnt lgkmcnt(1)
	v_pk_fma_f32 v[60:61], v[124:125], v[0:1], v[60:61] op_sel_hi:[0,1,1]
	scratch_load_dwordx2 v[0:1], off, off offset:40 ; 8-byte Folded Reload
	s_waitcnt lgkmcnt(0)
	v_pk_fma_f32 v[40:41], v[124:125], v[4:5], v[40:41] op_sel_hi:[0,1,1]
	s_waitcnt vmcnt(0)
	v_pk_fma_f32 v[16:17], v[124:125], v[2:3], v[0:1] op_sel_hi:[0,1,1]
	scratch_load_dwordx2 v[0:1], off, off offset:48 ; 8-byte Folded Reload
	s_waitcnt vmcnt(0)
	v_pk_fma_f32 v[18:19], v[124:125], v[6:7], v[0:1] op_sel_hi:[0,1,1]
	ds_read_b128 v[0:3], v119 offset:384
	ds_read_b128 v[4:7], v119 offset:400
	s_waitcnt lgkmcnt(1)
	v_pk_fma_f32 v[52:53], v[124:125], v[0:1], v[52:53] op_sel_hi:[0,1,1]
	v_pk_fma_f32 v[30:31], v[124:125], v[2:3], v[30:31] op_sel_hi:[0,1,1]
	s_waitcnt lgkmcnt(0)
	v_pk_fma_f32 v[32:33], v[124:125], v[4:5], v[32:33] op_sel_hi:[0,1,1]
	v_pk_fma_f32 v[34:35], v[124:125], v[6:7], v[34:35] op_sel_hi:[0,1,1]
	ds_read_b128 v[0:3], v119 offset:416
	ds_read_b128 v[4:7], v119 offset:432
	s_waitcnt lgkmcnt(1)
	v_pk_fma_f32 v[44:45], v[124:125], v[0:1], v[44:45] op_sel_hi:[0,1,1]
	scratch_store_dwordx2 off, v[44:45], off offset:32 ; 8-byte Folded Spill
	v_pk_fma_f32 v[22:23], v[124:125], v[2:3], v[22:23] op_sel_hi:[0,1,1]
	s_waitcnt lgkmcnt(0)
	v_pk_fma_f32 v[26:27], v[124:125], v[4:5], v[26:27] op_sel_hi:[0,1,1]
	v_pk_fma_f32 v[94:95], v[124:125], v[6:7], v[94:95] op_sel_hi:[0,1,1]
	ds_read_b128 v[0:3], v119 offset:448
	ds_read_b128 v[4:7], v119 offset:464
	s_waitcnt lgkmcnt(1)
	v_pk_fma_f32 v[48:49], v[124:125], v[0:1], v[48:49] op_sel_hi:[0,1,1]
	v_pk_fma_f32 v[38:39], v[124:125], v[2:3], v[38:39] op_sel_hi:[0,1,1]
	s_waitcnt lgkmcnt(0)
	v_pk_fma_f32 v[110:111], v[124:125], v[4:5], v[110:111] op_sel_hi:[0,1,1]
	v_pk_fma_f32 v[36:37], v[124:125], v[6:7], v[36:37] op_sel_hi:[0,1,1]
	ds_read_b128 v[0:3], v119 offset:480
	ds_read_b128 v[4:7], v119 offset:496
	s_waitcnt lgkmcnt(1)
	v_pk_fma_f32 v[28:29], v[124:125], v[0:1], v[28:29] op_sel_hi:[0,1,1]
	s_waitcnt lgkmcnt(0)
	v_pk_fma_f32 v[46:47], v[124:125], v[4:5], v[46:47] op_sel_hi:[0,1,1]
	scratch_store_dwordx2 off, v[46:47], off offset:24 ; 8-byte Folded Spill
	v_pk_fma_f32 v[88:89], v[124:125], v[2:3], v[88:89] op_sel_hi:[0,1,1]
	v_pk_fma_f32 v[124:125], v[124:125], v[6:7], v[12:13] op_sel_hi:[0,1,1]
	ds_read_b128 v[0:3], v119 offset:512
	ds_read_b128 v[4:7], v119 offset:528
	scratch_store_dwordx2 off, v[8:9], off offset:104 ; 8-byte Folded Spill
	scratch_store_dwordx2 off, v[54:55], off offset:208 ; 8-byte Folded Spill
	;; [unrolled: 1-line block ×3, first 2 shown]
	s_waitcnt lgkmcnt(1)
	v_fma_f32 v12, v8, v0, 0
	v_fmac_f32_e32 v12, v9, v1
	v_fmac_f32_e32 v12, v54, v2
	;; [unrolled: 1-line block ×3, first 2 shown]
	s_waitcnt lgkmcnt(0)
	v_fmac_f32_e32 v12, v42, v4
	v_fmac_f32_e32 v12, v43, v5
	;; [unrolled: 1-line block ×4, first 2 shown]
	ds_read_b128 v[0:3], v119 offset:544
	ds_read_b128 v[4:7], v119 offset:560
	scratch_store_dwordx2 off, v[78:79], off offset:216 ; 8-byte Folded Spill
	scratch_store_dwordx2 off, v[112:113], off offset:144 ; 8-byte Folded Spill
	;; [unrolled: 1-line block ×3, first 2 shown]
	s_waitcnt lgkmcnt(1)
	v_fmac_f32_e32 v12, v78, v0
	v_fmac_f32_e32 v12, v79, v1
	;; [unrolled: 1-line block ×4, first 2 shown]
	s_waitcnt lgkmcnt(0)
	v_fmac_f32_e32 v12, v122, v4
	v_fmac_f32_e32 v12, v123, v5
	;; [unrolled: 1-line block ×3, first 2 shown]
	scratch_store_dwordx2 off, v[24:25], off offset:80 ; 8-byte Folded Spill
	v_fmac_f32_e32 v12, v25, v7
	ds_read_b128 v[0:3], v119 offset:576
	ds_read_b128 v[4:7], v119 offset:592
	scratch_load_dwordx2 v[112:113], off, off offset:232 ; 8-byte Folded Reload
	scratch_load_dwordx2 v[122:123], off, off offset:224 ; 8-byte Folded Reload
	v_mov_b64_e32 v[8:9], v[26:27]
	scratch_load_dwordx2 v[26:27], off, off offset:200 ; 8-byte Folded Reload
	v_mov_b64_e32 v[78:79], v[8:9]
	s_waitcnt vmcnt(2) lgkmcnt(1)
	v_fmac_f32_e32 v12, v112, v0
	v_fmac_f32_e32 v12, v113, v1
	s_waitcnt vmcnt(1)
	v_fmac_f32_e32 v12, v122, v2
	v_fmac_f32_e32 v12, v123, v3
	s_waitcnt lgkmcnt(0)
	v_fmac_f32_e32 v12, v14, v4
	v_fmac_f32_e32 v12, v15, v5
	s_waitcnt vmcnt(0)
	v_fmac_f32_e32 v12, v26, v6
	v_fmac_f32_e32 v12, v27, v7
	ds_read_b128 v[0:3], v119 offset:608
	ds_read_b128 v[4:7], v119 offset:624
	scratch_load_dwordx2 v[54:55], off, off offset:192 ; 8-byte Folded Reload
	scratch_load_dwordx2 v[24:25], off, off offset:152 ; 8-byte Folded Reload
	s_waitcnt vmcnt(1) lgkmcnt(1)
	v_fmac_f32_e32 v12, v54, v0
	v_fmac_f32_e32 v12, v55, v1
	s_waitcnt vmcnt(0)
	v_fmac_f32_e32 v12, v24, v2
	v_fmac_f32_e32 v12, v25, v3
	s_waitcnt lgkmcnt(0)
	v_fmac_f32_e32 v12, v120, v4
	v_fmac_f32_e32 v12, v121, v5
	;; [unrolled: 1-line block ×4, first 2 shown]
	ds_read_b128 v[0:3], v119 offset:640
	ds_read_b128 v[4:7], v119 offset:656
	scratch_store_dwordx2 off, v[102:103], off offset:88 ; 8-byte Folded Spill
	scratch_store_dwordx2 off, v[114:115], off offset:128 ; 8-byte Folded Spill
	s_waitcnt lgkmcnt(1)
	v_fmac_f32_e32 v12, v116, v0
	v_fmac_f32_e32 v12, v117, v1
	v_fmac_f32_e32 v12, v106, v2
	v_fmac_f32_e32 v12, v107, v3
	s_waitcnt lgkmcnt(0)
	v_fmac_f32_e32 v12, v102, v4
	v_fmac_f32_e32 v12, v103, v5
	;; [unrolled: 1-line block ×4, first 2 shown]
	ds_read_b128 v[0:3], v119 offset:672
	ds_read_b128 v[4:7], v119 offset:688
	v_mov_b64_e32 v[102:103], v[18:19]
	v_mov_b64_e32 v[18:19], v[124:125]
	v_mov_b64_e32 v[114:115], v[14:15]
	s_waitcnt lgkmcnt(1)
	v_fmac_f32_e32 v12, v108, v0
	v_fmac_f32_e32 v12, v109, v1
	v_fmac_f32_e32 v12, v74, v2
	v_fmac_f32_e32 v12, v75, v3
	s_waitcnt lgkmcnt(0)
	v_fmac_f32_e32 v12, v64, v4
	v_fmac_f32_e32 v12, v65, v5
	;; [unrolled: 1-line block ×4, first 2 shown]
	ds_read_b128 v[0:3], v119 offset:704
	ds_read_b128 v[4:7], v119 offset:720
	scratch_store_dwordx2 off, v[96:97], off offset:120 ; 8-byte Folded Spill
	v_mov_b64_e32 v[14:15], v[62:63]
	s_waitcnt lgkmcnt(1)
	v_fmac_f32_e32 v12, v100, v0
	v_fmac_f32_e32 v12, v101, v1
	;; [unrolled: 1-line block ×4, first 2 shown]
	s_waitcnt lgkmcnt(0)
	v_fmac_f32_e32 v12, v96, v4
	v_fmac_f32_e32 v12, v97, v5
	;; [unrolled: 1-line block ×4, first 2 shown]
	ds_read_b128 v[0:3], v119 offset:736
	ds_read_b128 v[4:7], v119 offset:752
	scratch_store_dwordx2 off, v[86:87], off offset:112 ; 8-byte Folded Spill
	v_mov_b64_e32 v[96:97], v[98:99]
	v_mov_b64_e32 v[62:63], v[72:73]
	s_waitcnt lgkmcnt(1)
	v_fmac_f32_e32 v12, v92, v0
	v_fmac_f32_e32 v12, v93, v1
	;; [unrolled: 1-line block ×4, first 2 shown]
	s_waitcnt lgkmcnt(0)
	v_fmac_f32_e32 v12, v80, v4
	v_fmac_f32_e32 v12, v81, v5
	;; [unrolled: 1-line block ×4, first 2 shown]
	ds_read_b128 v[0:3], v119 offset:768
	ds_read_b128 v[4:7], v119 offset:784
	scratch_store_dwordx2 off, v[82:83], off offset:72 ; 8-byte Folded Spill
	s_waitcnt lgkmcnt(1)
	v_fmac_f32_e32 v12, v84, v0
	v_fmac_f32_e32 v12, v85, v1
	v_fmac_f32_e32 v12, v82, v2
	v_fmac_f32_e32 v12, v83, v3
	s_waitcnt lgkmcnt(0)
	v_fmac_f32_e32 v12, v90, v4
	v_fmac_f32_e32 v12, v91, v5
	;; [unrolled: 1-line block ×4, first 2 shown]
	ds_read_b128 v[0:3], v119 offset:800
	ds_read_b128 v[4:7], v119 offset:816
	v_mov_b64_e32 v[82:83], v[38:39]
	v_mov_b64_e32 v[38:39], v[94:95]
	s_waitcnt lgkmcnt(1)
	v_fmac_f32_e32 v12, v76, v0
	v_fmac_f32_e32 v12, v77, v1
	;; [unrolled: 1-line block ×4, first 2 shown]
	s_waitcnt lgkmcnt(0)
	v_fmac_f32_e32 v12, v20, v4
	v_fmac_f32_e32 v12, v21, v5
	;; [unrolled: 1-line block ×4, first 2 shown]
	ds_read_b128 v[0:3], v119 offset:832
	ds_read_b128 v[4:7], v119 offset:848
	scratch_store_dwordx2 off, v[126:127], off offset:64 ; 8-byte Folded Spill
	s_waitcnt lgkmcnt(1)
	v_fmac_f32_e32 v12, v68, v0
	v_fmac_f32_e32 v12, v69, v1
	scratch_load_dwordx2 v[0:1], off, off   ; 8-byte Folded Reload
	v_fmac_f32_e32 v12, v66, v2
	v_fmac_f32_e32 v12, v67, v3
	s_waitcnt lgkmcnt(0)
	v_fmac_f32_e32 v12, v126, v4
	v_fmac_f32_e32 v12, v127, v5
	v_mov_b64_e32 v[126:127], v[50:51]
	s_waitcnt vmcnt(0)
	v_fmac_f32_e32 v12, v0, v6
	v_fmac_f32_e32 v12, v1, v7
	ds_read_b128 v[0:3], v119 offset:864
	ds_read_b128 v[4:7], v119 offset:880
	scratch_store_dwordx2 off, v[16:17], off offset:40 ; 8-byte Folded Spill
	scratch_store_dwordx2 off, v[40:41], off offset:48 ; 8-byte Folded Spill
	s_waitcnt lgkmcnt(1)
	v_fmac_f32_e32 v12, v60, v0
	v_fmac_f32_e32 v12, v61, v1
	;; [unrolled: 1-line block ×4, first 2 shown]
	s_waitcnt lgkmcnt(0)
	v_fmac_f32_e32 v12, v40, v4
	v_fmac_f32_e32 v12, v41, v5
	;; [unrolled: 1-line block ×4, first 2 shown]
	ds_read_b128 v[0:3], v119 offset:896
	ds_read_b128 v[4:7], v119 offset:912
	v_mov_b64_e32 v[40:41], v[106:107]
	s_waitcnt lgkmcnt(1)
	v_fmac_f32_e32 v12, v52, v0
	v_fmac_f32_e32 v12, v53, v1
	;; [unrolled: 1-line block ×4, first 2 shown]
	s_waitcnt lgkmcnt(0)
	v_fmac_f32_e32 v12, v32, v4
	v_fmac_f32_e32 v12, v33, v5
	;; [unrolled: 1-line block ×4, first 2 shown]
	ds_read_b128 v[0:3], v119 offset:928
	ds_read_b128 v[4:7], v119 offset:944
	s_waitcnt lgkmcnt(1)
	v_fmac_f32_e32 v12, v44, v0
	v_fmac_f32_e32 v12, v45, v1
	;; [unrolled: 1-line block ×4, first 2 shown]
	s_waitcnt lgkmcnt(0)
	v_fmac_f32_e32 v12, v8, v4
	v_fmac_f32_e32 v12, v9, v5
	;; [unrolled: 1-line block ×4, first 2 shown]
	v_mov_b64_e32 v[94:95], v[22:23]
	v_mov_b64_e32 v[22:23], v[34:35]
	;; [unrolled: 1-line block ×4, first 2 shown]
	scratch_load_dwordx2 v[30:31], off, off offset:8 ; 8-byte Folded Reload
	ds_read_b128 v[0:3], v119 offset:960
	ds_read_b128 v[4:7], v119 offset:976
	scratch_store_dwordx2 off, v[48:49], off offset:56 ; 8-byte Folded Spill
	v_mov_b64_e32 v[44:45], v[68:69]
	v_mov_b64_e32 v[68:69], v[92:93]
	s_waitcnt lgkmcnt(1)
	v_fmac_f32_e32 v12, v48, v0
	v_fmac_f32_e32 v12, v49, v1
	;; [unrolled: 1-line block ×4, first 2 shown]
	s_waitcnt lgkmcnt(0)
	v_pk_mul_f32 v[8:9], v[110:111], v[4:5]
	v_pk_mul_f32 v[10:11], v[36:37], v[6:7]
	ds_read_b128 v[0:3], v119 offset:992
	ds_read_b128 v[4:7], v119 offset:1008
	v_add_f32_e32 v8, v12, v8
	v_add_f32_e32 v8, v8, v9
	;; [unrolled: 1-line block ×3, first 2 shown]
	s_waitcnt lgkmcnt(1)
	v_pk_mul_f32 v[0:1], v[28:29], v[0:1]
	v_add_f32_e32 v8, v8, v11
	v_add_f32_e32 v0, v8, v0
	v_pk_mul_f32 v[2:3], v[88:89], v[2:3]
	v_add_f32_e32 v0, v0, v1
	v_add_f32_e32 v0, v0, v2
	s_waitcnt lgkmcnt(0)
	v_pk_mul_f32 v[4:5], v[46:47], v[4:5]
	v_add_f32_e32 v0, v0, v3
	v_add_f32_e32 v0, v0, v4
	v_pk_mul_f32 v[6:7], v[124:125], v[6:7]
	v_add_f32_e32 v0, v0, v5
	v_add_f32_e32 v0, v0, v6
	v_add_f32_e32 v0, v0, v7
	v_mul_f32_e32 v2, s16, v0
	v_mov_b64_e32 v[48:49], v[88:89]
	v_mov_b64_e32 v[88:89], v[70:71]
	;; [unrolled: 1-line block ×3, first 2 shown]
	scratch_load_dwordx2 v[86:87], off, off offset:216 ; 8-byte Folded Reload
	v_mov_b64_e32 v[12:13], v[104:105]
	scratch_load_dwordx2 v[104:105], off, off offset:144 ; 8-byte Folded Reload
	v_mov_b64_e32 v[70:71], v[120:121]
	v_mov_b64_e32 v[90:91], v[74:75]
	;; [unrolled: 1-line block ×3, first 2 shown]
	scratch_load_dwordx2 v[26:27], off, off offset:208 ; 8-byte Folded Reload
	scratch_load_dwordx2 v[120:121], off, off offset:136 ; 8-byte Folded Reload
	v_mov_b64_e32 v[92:93], v[116:117]
	scratch_store_dwordx2 off, v[28:29], off offset:16 ; 8-byte Folded Spill
	v_mov_b64_e32 v[116:117], v[24:25]
	v_mov_b64_e32 v[8:9], v[36:37]
	;; [unrolled: 1-line block ×13, first 2 shown]
	s_waitcnt vmcnt(6)
	v_lshl_add_u64 v[0:1], s[14:15], 0, v[30:31]
	global_store_dword v[0:1], v2, off
	scratch_load_dword v0, off, off offset:240 ; 4-byte Folded Reload
	v_lshl_add_u64 v[30:31], v[30:31], 0, s[12:13]
	s_waitcnt vmcnt(0)
	v_cmp_ge_i32_e32 vcc, v118, v0
	s_or_b64 s[0:1], vcc, s[0:1]
	s_andn2_b64 exec, exec, s[0:1]
	s_cbranch_execnz .LBB1_2
; %bb.3:
	s_or_b64 exec, exec, s[0:1]
	scratch_load_dwordx2 v[2:3], off, off offset:248 ; 8-byte Folded Reload
	scratch_load_dwordx2 v[4:5], off, off offset:72 ; 8-byte Folded Reload
	v_mov_b64_e32 v[30:31], v[88:89]
	v_mov_b64_e32 v[88:89], v[40:41]
	scratch_load_dwordx2 v[40:41], off, off offset:112 ; 8-byte Folded Reload
	v_mov_b64_e32 v[24:25], v[14:15]
	scratch_store_dwordx2 off, v[102:103], off offset:168 ; 8-byte Folded Spill
	scratch_store_dwordx2 off, v[70:71], off offset:176 ; 8-byte Folded Spill
	;; [unrolled: 1-line block ×4, first 2 shown]
	v_mov_b64_e32 v[64:65], v[62:63]
	v_mov_b64_e32 v[14:15], v[96:97]
	scratch_load_dwordx2 v[50:51], off, off offset:80 ; 8-byte Folded Reload
	scratch_load_dwordx2 v[106:107], off, off offset:120 ; 8-byte Folded Reload
	;; [unrolled: 1-line block ×6, first 2 shown]
	v_mov_b64_e32 v[70:71], v[38:39]
	v_mov_b64_e32 v[122:123], v[80:81]
	;; [unrolled: 1-line block ×8, first 2 shown]
	scratch_load_dwordx2 v[74:75], off, off offset:104 ; 8-byte Folded Reload
	scratch_load_dwordx2 v[38:39], off, off offset:56 ; 8-byte Folded Reload
	v_mov_b64_e32 v[64:65], v[14:15]
	v_mov_b64_e32 v[102:103], v[114:115]
	;; [unrolled: 1-line block ×3, first 2 shown]
	s_waitcnt vmcnt(12)
	v_mov_b64_e32 v[124:125], v[40:41]
	scratch_load_dwordx2 v[14:15], off, off offset:40 ; 8-byte Folded Reload
	scratch_load_dwordx2 v[40:41], off, off offset:48 ; 8-byte Folded Reload
.LBB1_4:
	s_or_b64 exec, exec, s[2:3]
	s_mul_i32 s0, s18, s17
	v_add_u32_e32 v2, s0, v2
	v_ashrrev_i32_e32 v3, 31, v2
	v_lshl_add_u64 v[0:1], v[2:3], 2, s[14:15]
	s_waitcnt vmcnt(3)
	global_store_dword v[0:1], v74, off
	global_store_dword v[0:1], v75, off offset:512
	global_store_dword v[0:1], v26, off offset:1024
	global_store_dword v[0:1], v27, off offset:1536
	global_store_dword v[0:1], v42, off offset:2048
	global_store_dword v[0:1], v43, off offset:2560
	global_store_dword v[0:1], v62, off offset:3072
	global_store_dword v[0:1], v63, off offset:3584
	scratch_load_dwordx2 v[10:11], off, off offset:176 ; 8-byte Folded Reload
	v_add_u32_e32 v0, 0x400, v2
	v_ashrrev_i32_e32 v1, 31, v0
	v_lshl_add_u64 v[0:1], v[0:1], 2, s[14:15]
	global_store_dword v[0:1], v86, off
	v_add_u32_e32 v0, 0x480, v2
	v_ashrrev_i32_e32 v1, 31, v0
	v_lshl_add_u64 v[0:1], v[0:1], 2, s[14:15]
	global_store_dword v[0:1], v87, off
	;; [unrolled: 4-line block ×10, first 2 shown]
	v_add_u32_e32 v0, 0x900, v2
	v_ashrrev_i32_e32 v1, 31, v0
	scratch_load_dwordx2 v[50:51], off, off offset:160 ; 8-byte Folded Reload
	v_lshl_add_u64 v[0:1], v[0:1], 2, s[14:15]
	global_store_dword v[0:1], v110, off
	v_add_u32_e32 v0, 0x980, v2
	v_ashrrev_i32_e32 v1, 31, v0
	v_lshl_add_u64 v[0:1], v[0:1], 2, s[14:15]
	global_store_dword v[0:1], v111, off
	v_add_u32_e32 v0, 0xa00, v2
	v_ashrrev_i32_e32 v1, 31, v0
	;; [unrolled: 4-line block ×10, first 2 shown]
	v_lshl_add_u64 v[0:1], v[0:1], 2, s[14:15]
	s_waitcnt vmcnt(21)
	global_store_dword v[0:1], v10, off
	v_add_u32_e32 v0, 0xe80, v2
	v_ashrrev_i32_e32 v1, 31, v0
	v_lshl_add_u64 v[0:1], v[0:1], 2, s[14:15]
	global_store_dword v[0:1], v11, off
	v_add_u32_e32 v0, 0xf00, v2
	v_ashrrev_i32_e32 v1, 31, v0
	v_lshl_add_u64 v[0:1], v[0:1], 2, s[14:15]
	;; [unrolled: 4-line block ×16, first 2 shown]
	s_waitcnt vmcnt(26)
	global_store_dword v[0:1], v50, off
	v_add_u32_e32 v0, 0x1680, v2
	v_ashrrev_i32_e32 v1, 31, v0
	v_lshl_add_u64 v[0:1], v[0:1], 2, s[14:15]
	global_store_dword v[0:1], v51, off
	v_add_u32_e32 v0, 0x1700, v2
	v_ashrrev_i32_e32 v1, 31, v0
	v_lshl_add_u64 v[0:1], v[0:1], 2, s[14:15]
	;; [unrolled: 4-line block ×23, first 2 shown]
	global_store_dword v[0:1], v5, off
	scratch_load_dwordx2 v[4:5], off, off offset:8 ; 8-byte Folded Reload
	v_add_u32_e32 v0, 0x2200, v2
	v_ashrrev_i32_e32 v1, 31, v0
	v_lshl_add_u64 v[0:1], v[0:1], 2, s[14:15]
	global_store_dword v[0:1], v16, off
	v_add_u32_e32 v0, 0x2280, v2
	v_ashrrev_i32_e32 v1, 31, v0
	v_lshl_add_u64 v[0:1], v[0:1], 2, s[14:15]
	global_store_dword v[0:1], v17, off
	;; [unrolled: 4-line block ×8, first 2 shown]
	v_add_u32_e32 v0, 0x2600, v2
	v_ashrrev_i32_e32 v1, 31, v0
	v_lshl_add_u64 v[0:1], v[0:1], 2, s[14:15]
	scratch_load_dwordx2 v[42:43], off, off offset:168 ; 8-byte Folded Reload
	scratch_load_dwordx2 v[48:49], off, off offset:16 ; 8-byte Folded Reload
	s_waitcnt vmcnt(10)
	global_store_dword v[0:1], v4, off
	v_add_u32_e32 v0, 0x2680, v2
	v_ashrrev_i32_e32 v1, 31, v0
	v_lshl_add_u64 v[0:1], v[0:1], 2, s[14:15]
	global_store_dword v[0:1], v5, off
	scratch_load_dwordx2 v[4:5], off, off   ; 8-byte Folded Reload
	v_add_u32_e32 v0, 0x2700, v2
	v_ashrrev_i32_e32 v1, 31, v0
	v_lshl_add_u64 v[0:1], v[0:1], 2, s[14:15]
	global_store_dword v[0:1], v58, off
	v_add_u32_e32 v0, 0x2780, v2
	v_ashrrev_i32_e32 v1, 31, v0
	v_lshl_add_u64 v[0:1], v[0:1], 2, s[14:15]
	global_store_dword v[0:1], v59, off
	;; [unrolled: 4-line block ×8, first 2 shown]
	v_add_u32_e32 v0, 0x2b00, v2
	v_ashrrev_i32_e32 v1, 31, v0
	v_lshl_add_u64 v[0:1], v[0:1], 2, s[14:15]
	s_waitcnt vmcnt(8)
	global_store_dword v[0:1], v4, off
	v_add_u32_e32 v0, 0x2b80, v2
	v_ashrrev_i32_e32 v1, 31, v0
	v_lshl_add_u64 v[0:1], v[0:1], 2, s[14:15]
	global_store_dword v[0:1], v5, off
	scratch_load_dwordx2 v[4:5], off, off offset:32 ; 8-byte Folded Reload
	v_add_u32_e32 v0, 0x2c00, v2
	v_ashrrev_i32_e32 v1, 31, v0
	v_lshl_add_u64 v[0:1], v[0:1], 2, s[14:15]
	global_store_dword v[0:1], v36, off
	v_add_u32_e32 v0, 0x2c80, v2
	v_ashrrev_i32_e32 v1, 31, v0
	v_lshl_add_u64 v[0:1], v[0:1], 2, s[14:15]
	global_store_dword v[0:1], v37, off
	;; [unrolled: 4-line block ×16, first 2 shown]
	v_add_u32_e32 v0, 0x3400, v2
	v_ashrrev_i32_e32 v1, 31, v0
	v_lshl_add_u64 v[0:1], v[0:1], 2, s[14:15]
	s_waitcnt vmcnt(16)
	global_store_dword v[0:1], v4, off
	v_add_u32_e32 v0, 0x3480, v2
	v_ashrrev_i32_e32 v1, 31, v0
	v_lshl_add_u64 v[0:1], v[0:1], 2, s[14:15]
	global_store_dword v[0:1], v5, off
	scratch_load_dwordx2 v[4:5], off, off offset:24 ; 8-byte Folded Reload
	v_add_u32_e32 v0, 0x3500, v2
	v_ashrrev_i32_e32 v1, 31, v0
	v_lshl_add_u64 v[0:1], v[0:1], 2, s[14:15]
	global_store_dword v[0:1], v94, off
	v_add_u32_e32 v0, 0x3580, v2
	v_ashrrev_i32_e32 v1, 31, v0
	v_lshl_add_u64 v[0:1], v[0:1], 2, s[14:15]
	global_store_dword v[0:1], v95, off
	;; [unrolled: 4-line block ×18, first 2 shown]
	v_add_u32_e32 v0, 0x3e00, v2
	v_ashrrev_i32_e32 v1, 31, v0
	v_lshl_add_u64 v[0:1], v[0:1], 2, s[14:15]
	s_waitcnt vmcnt(18)
	global_store_dword v[0:1], v4, off
	v_add_u32_e32 v0, 0x3e80, v2
	v_ashrrev_i32_e32 v1, 31, v0
	v_lshl_add_u64 v[0:1], v[0:1], 2, s[14:15]
	global_store_dword v[0:1], v5, off
	v_add_u32_e32 v0, 0x3f00, v2
	v_ashrrev_i32_e32 v1, 31, v0
	v_lshl_add_u64 v[0:1], v[0:1], 2, s[14:15]
	;; [unrolled: 4-line block ×3, first 2 shown]
	global_store_dword v[0:1], v19, off
	s_endpgm
	.section	.rodata,"a",@progbits
	.p2align	6, 0x0
	.amdhsa_kernel _ZL21gated_linear_attn_f32ILi128EEviiiifPKfS1_S1_S1_S1_Pf
		.amdhsa_group_segment_fixed_size 1536
		.amdhsa_private_segment_fixed_size 260
		.amdhsa_kernarg_size 72
		.amdhsa_user_sgpr_count 2
		.amdhsa_user_sgpr_dispatch_ptr 0
		.amdhsa_user_sgpr_queue_ptr 0
		.amdhsa_user_sgpr_kernarg_segment_ptr 1
		.amdhsa_user_sgpr_dispatch_id 0
		.amdhsa_user_sgpr_kernarg_preload_length 0
		.amdhsa_user_sgpr_kernarg_preload_offset 0
		.amdhsa_user_sgpr_private_segment_size 0
		.amdhsa_uses_dynamic_stack 0
		.amdhsa_enable_private_segment 1
		.amdhsa_system_sgpr_workgroup_id_x 1
		.amdhsa_system_sgpr_workgroup_id_y 0
		.amdhsa_system_sgpr_workgroup_id_z 0
		.amdhsa_system_sgpr_workgroup_info 0
		.amdhsa_system_vgpr_workitem_id 0
		.amdhsa_next_free_vgpr 128
		.amdhsa_next_free_sgpr 20
		.amdhsa_accum_offset 128
		.amdhsa_reserve_vcc 1
		.amdhsa_float_round_mode_32 0
		.amdhsa_float_round_mode_16_64 0
		.amdhsa_float_denorm_mode_32 3
		.amdhsa_float_denorm_mode_16_64 3
		.amdhsa_dx10_clamp 1
		.amdhsa_ieee_mode 1
		.amdhsa_fp16_overflow 0
		.amdhsa_tg_split 0
		.amdhsa_exception_fp_ieee_invalid_op 0
		.amdhsa_exception_fp_denorm_src 0
		.amdhsa_exception_fp_ieee_div_zero 0
		.amdhsa_exception_fp_ieee_overflow 0
		.amdhsa_exception_fp_ieee_underflow 0
		.amdhsa_exception_fp_ieee_inexact 0
		.amdhsa_exception_int_div_zero 0
	.end_amdhsa_kernel
	.section	.text._ZL21gated_linear_attn_f32ILi128EEviiiifPKfS1_S1_S1_S1_Pf,"axG",@progbits,_ZL21gated_linear_attn_f32ILi128EEviiiifPKfS1_S1_S1_S1_Pf,comdat
.Lfunc_end1:
	.size	_ZL21gated_linear_attn_f32ILi128EEviiiifPKfS1_S1_S1_S1_Pf, .Lfunc_end1-_ZL21gated_linear_attn_f32ILi128EEviiiifPKfS1_S1_S1_S1_Pf
                                        ; -- End function
	.set _ZL21gated_linear_attn_f32ILi128EEviiiifPKfS1_S1_S1_S1_Pf.num_vgpr, 128
	.set _ZL21gated_linear_attn_f32ILi128EEviiiifPKfS1_S1_S1_S1_Pf.num_agpr, 0
	.set _ZL21gated_linear_attn_f32ILi128EEviiiifPKfS1_S1_S1_S1_Pf.numbered_sgpr, 20
	.set _ZL21gated_linear_attn_f32ILi128EEviiiifPKfS1_S1_S1_S1_Pf.num_named_barrier, 0
	.set _ZL21gated_linear_attn_f32ILi128EEviiiifPKfS1_S1_S1_S1_Pf.private_seg_size, 260
	.set _ZL21gated_linear_attn_f32ILi128EEviiiifPKfS1_S1_S1_S1_Pf.uses_vcc, 1
	.set _ZL21gated_linear_attn_f32ILi128EEviiiifPKfS1_S1_S1_S1_Pf.uses_flat_scratch, 0
	.set _ZL21gated_linear_attn_f32ILi128EEviiiifPKfS1_S1_S1_S1_Pf.has_dyn_sized_stack, 0
	.set _ZL21gated_linear_attn_f32ILi128EEviiiifPKfS1_S1_S1_S1_Pf.has_recursion, 0
	.set _ZL21gated_linear_attn_f32ILi128EEviiiifPKfS1_S1_S1_S1_Pf.has_indirect_call, 0
	.section	.AMDGPU.csdata,"",@progbits
; Kernel info:
; codeLenInByte = 11876
; TotalNumSgprs: 26
; NumVgprs: 128
; NumAgprs: 0
; TotalNumVgprs: 128
; ScratchSize: 260
; MemoryBound: 0
; FloatMode: 240
; IeeeMode: 1
; LDSByteSize: 1536 bytes/workgroup (compile time only)
; SGPRBlocks: 3
; VGPRBlocks: 15
; NumSGPRsForWavesPerEU: 26
; NumVGPRsForWavesPerEU: 128
; AccumOffset: 128
; Occupancy: 4
; WaveLimiterHint : 1
; COMPUTE_PGM_RSRC2:SCRATCH_EN: 1
; COMPUTE_PGM_RSRC2:USER_SGPR: 2
; COMPUTE_PGM_RSRC2:TRAP_HANDLER: 0
; COMPUTE_PGM_RSRC2:TGID_X_EN: 1
; COMPUTE_PGM_RSRC2:TGID_Y_EN: 0
; COMPUTE_PGM_RSRC2:TGID_Z_EN: 0
; COMPUTE_PGM_RSRC2:TIDIG_COMP_CNT: 0
; COMPUTE_PGM_RSRC3_GFX90A:ACCUM_OFFSET: 31
; COMPUTE_PGM_RSRC3_GFX90A:TG_SPLIT: 0
	.section	.AMDGPU.gpr_maximums,"",@progbits
	.set amdgpu.max_num_vgpr, 0
	.set amdgpu.max_num_agpr, 0
	.set amdgpu.max_num_sgpr, 0
	.section	.AMDGPU.csdata,"",@progbits
	.type	__hip_cuid_d21d4f58c0b49f67,@object ; @__hip_cuid_d21d4f58c0b49f67
	.section	.bss,"aw",@nobits
	.globl	__hip_cuid_d21d4f58c0b49f67
__hip_cuid_d21d4f58c0b49f67:
	.byte	0                               ; 0x0
	.size	__hip_cuid_d21d4f58c0b49f67, 1

	.ident	"AMD clang version 22.0.0git (https://github.com/RadeonOpenCompute/llvm-project roc-7.2.4 26084 f58b06dce1f9c15707c5f808fd002e18c2accf7e)"
	.section	".note.GNU-stack","",@progbits
	.addrsig
	.addrsig_sym __hip_cuid_d21d4f58c0b49f67
	.amdgpu_metadata
---
amdhsa.kernels:
  - .agpr_count:     0
    .args:
      - .offset:         0
        .size:           4
        .value_kind:     by_value
      - .offset:         4
        .size:           4
        .value_kind:     by_value
      - .offset:         8
        .size:           4
        .value_kind:     by_value
      - .offset:         12
        .size:           4
        .value_kind:     by_value
      - .offset:         16
        .size:           4
        .value_kind:     by_value
      - .address_space:  global
        .offset:         24
        .size:           8
        .value_kind:     global_buffer
      - .address_space:  global
        .offset:         32
        .size:           8
        .value_kind:     global_buffer
      - .address_space:  global
        .offset:         40
        .size:           8
        .value_kind:     global_buffer
      - .address_space:  global
        .offset:         48
        .size:           8
        .value_kind:     global_buffer
      - .address_space:  global
        .offset:         56
        .size:           8
        .value_kind:     global_buffer
      - .address_space:  global
        .offset:         64
        .size:           8
        .value_kind:     global_buffer
    .group_segment_fixed_size: 768
    .kernarg_segment_align: 8
    .kernarg_segment_size: 72
    .language:       OpenCL C
    .language_version:
      - 2
      - 0
    .max_flat_workgroup_size: 1024
    .name:           _ZL21gated_linear_attn_f32ILi64EEviiiifPKfS1_S1_S1_S1_Pf
    .private_segment_fixed_size: 24
    .sgpr_count:     26
    .sgpr_spill_count: 0
    .symbol:         _ZL21gated_linear_attn_f32ILi64EEviiiifPKfS1_S1_S1_S1_Pf.kd
    .uniform_work_group_size: 1
    .uses_dynamic_stack: false
    .vgpr_count:     128
    .vgpr_spill_count: 5
    .wavefront_size: 64
  - .agpr_count:     0
    .args:
      - .offset:         0
        .size:           4
        .value_kind:     by_value
      - .offset:         4
        .size:           4
        .value_kind:     by_value
      - .offset:         8
        .size:           4
        .value_kind:     by_value
      - .offset:         12
        .size:           4
        .value_kind:     by_value
      - .offset:         16
        .size:           4
        .value_kind:     by_value
      - .address_space:  global
        .offset:         24
        .size:           8
        .value_kind:     global_buffer
      - .address_space:  global
        .offset:         32
        .size:           8
        .value_kind:     global_buffer
      - .address_space:  global
        .offset:         40
        .size:           8
        .value_kind:     global_buffer
      - .address_space:  global
        .offset:         48
        .size:           8
        .value_kind:     global_buffer
      - .address_space:  global
        .offset:         56
        .size:           8
        .value_kind:     global_buffer
      - .address_space:  global
        .offset:         64
        .size:           8
        .value_kind:     global_buffer
    .group_segment_fixed_size: 1536
    .kernarg_segment_align: 8
    .kernarg_segment_size: 72
    .language:       OpenCL C
    .language_version:
      - 2
      - 0
    .max_flat_workgroup_size: 1024
    .name:           _ZL21gated_linear_attn_f32ILi128EEviiiifPKfS1_S1_S1_S1_Pf
    .private_segment_fixed_size: 260
    .sgpr_count:     26
    .sgpr_spill_count: 0
    .symbol:         _ZL21gated_linear_attn_f32ILi128EEviiiifPKfS1_S1_S1_S1_Pf.kd
    .uniform_work_group_size: 1
    .uses_dynamic_stack: false
    .vgpr_count:     128
    .vgpr_spill_count: 144
    .wavefront_size: 64
amdhsa.target:   amdgcn-amd-amdhsa--gfx950
amdhsa.version:
  - 1
  - 2
...

	.end_amdgpu_metadata
